;; amdgpu-corpus repo=ROCm/rocFFT kind=compiled arch=gfx1030 opt=O3
	.text
	.amdgcn_target "amdgcn-amd-amdhsa--gfx1030"
	.amdhsa_code_object_version 6
	.protected	fft_rtc_back_len1782_factors_11_3_3_3_3_2_wgs_99_tpt_99_halfLds_sp_op_CI_CI_unitstride_sbrr_C2R_dirReg ; -- Begin function fft_rtc_back_len1782_factors_11_3_3_3_3_2_wgs_99_tpt_99_halfLds_sp_op_CI_CI_unitstride_sbrr_C2R_dirReg
	.globl	fft_rtc_back_len1782_factors_11_3_3_3_3_2_wgs_99_tpt_99_halfLds_sp_op_CI_CI_unitstride_sbrr_C2R_dirReg
	.p2align	8
	.type	fft_rtc_back_len1782_factors_11_3_3_3_3_2_wgs_99_tpt_99_halfLds_sp_op_CI_CI_unitstride_sbrr_C2R_dirReg,@function
fft_rtc_back_len1782_factors_11_3_3_3_3_2_wgs_99_tpt_99_halfLds_sp_op_CI_CI_unitstride_sbrr_C2R_dirReg: ; @fft_rtc_back_len1782_factors_11_3_3_3_3_2_wgs_99_tpt_99_halfLds_sp_op_CI_CI_unitstride_sbrr_C2R_dirReg
; %bb.0:
	s_clause 0x2
	s_load_dwordx4 s[12:15], s[4:5], 0x0
	s_load_dwordx4 s[8:11], s[4:5], 0x58
	;; [unrolled: 1-line block ×3, first 2 shown]
	v_mul_u32_u24_e32 v1, 0x296, v0
	v_mov_b32_e32 v3, 0
	v_add_nc_u32_sdwa v5, s6, v1 dst_sel:DWORD dst_unused:UNUSED_PAD src0_sel:DWORD src1_sel:WORD_1
	v_mov_b32_e32 v1, 0
	v_mov_b32_e32 v6, v3
	v_mov_b32_e32 v2, 0
	s_waitcnt lgkmcnt(0)
	v_cmp_lt_u64_e64 s0, s[14:15], 2
	s_and_b32 vcc_lo, exec_lo, s0
	s_cbranch_vccnz .LBB0_8
; %bb.1:
	s_load_dwordx2 s[0:1], s[4:5], 0x10
	v_mov_b32_e32 v1, 0
	v_mov_b32_e32 v2, 0
	s_add_u32 s2, s18, 8
	s_addc_u32 s3, s19, 0
	s_add_u32 s6, s16, 8
	s_addc_u32 s7, s17, 0
	v_mov_b32_e32 v45, v2
	v_mov_b32_e32 v44, v1
	s_mov_b64 s[22:23], 1
	s_waitcnt lgkmcnt(0)
	s_add_u32 s20, s0, 8
	s_addc_u32 s21, s1, 0
.LBB0_2:                                ; =>This Inner Loop Header: Depth=1
	s_load_dwordx2 s[24:25], s[20:21], 0x0
                                        ; implicit-def: $vgpr46_vgpr47
	s_mov_b32 s0, exec_lo
	s_waitcnt lgkmcnt(0)
	v_or_b32_e32 v4, s25, v6
	v_cmpx_ne_u64_e32 0, v[3:4]
	s_xor_b32 s1, exec_lo, s0
	s_cbranch_execz .LBB0_4
; %bb.3:                                ;   in Loop: Header=BB0_2 Depth=1
	v_cvt_f32_u32_e32 v4, s24
	v_cvt_f32_u32_e32 v7, s25
	s_sub_u32 s0, 0, s24
	s_subb_u32 s26, 0, s25
	v_fmac_f32_e32 v4, 0x4f800000, v7
	v_rcp_f32_e32 v4, v4
	v_mul_f32_e32 v4, 0x5f7ffffc, v4
	v_mul_f32_e32 v7, 0x2f800000, v4
	v_trunc_f32_e32 v7, v7
	v_fmac_f32_e32 v4, 0xcf800000, v7
	v_cvt_u32_f32_e32 v7, v7
	v_cvt_u32_f32_e32 v4, v4
	v_mul_lo_u32 v8, s0, v7
	v_mul_hi_u32 v9, s0, v4
	v_mul_lo_u32 v10, s26, v4
	v_add_nc_u32_e32 v8, v9, v8
	v_mul_lo_u32 v9, s0, v4
	v_add_nc_u32_e32 v8, v8, v10
	v_mul_hi_u32 v10, v4, v9
	v_mul_lo_u32 v11, v4, v8
	v_mul_hi_u32 v12, v4, v8
	v_mul_hi_u32 v13, v7, v9
	v_mul_lo_u32 v9, v7, v9
	v_mul_hi_u32 v14, v7, v8
	v_mul_lo_u32 v8, v7, v8
	v_add_co_u32 v10, vcc_lo, v10, v11
	v_add_co_ci_u32_e32 v11, vcc_lo, 0, v12, vcc_lo
	v_add_co_u32 v9, vcc_lo, v10, v9
	v_add_co_ci_u32_e32 v9, vcc_lo, v11, v13, vcc_lo
	v_add_co_ci_u32_e32 v10, vcc_lo, 0, v14, vcc_lo
	v_add_co_u32 v8, vcc_lo, v9, v8
	v_add_co_ci_u32_e32 v9, vcc_lo, 0, v10, vcc_lo
	v_add_co_u32 v4, vcc_lo, v4, v8
	v_add_co_ci_u32_e32 v7, vcc_lo, v7, v9, vcc_lo
	v_mul_hi_u32 v8, s0, v4
	v_mul_lo_u32 v10, s26, v4
	v_mul_lo_u32 v9, s0, v7
	v_add_nc_u32_e32 v8, v8, v9
	v_mul_lo_u32 v9, s0, v4
	v_add_nc_u32_e32 v8, v8, v10
	v_mul_hi_u32 v10, v4, v9
	v_mul_lo_u32 v11, v4, v8
	v_mul_hi_u32 v12, v4, v8
	v_mul_hi_u32 v13, v7, v9
	v_mul_lo_u32 v9, v7, v9
	v_mul_hi_u32 v14, v7, v8
	v_mul_lo_u32 v8, v7, v8
	v_add_co_u32 v10, vcc_lo, v10, v11
	v_add_co_ci_u32_e32 v11, vcc_lo, 0, v12, vcc_lo
	v_add_co_u32 v9, vcc_lo, v10, v9
	v_add_co_ci_u32_e32 v9, vcc_lo, v11, v13, vcc_lo
	v_add_co_ci_u32_e32 v10, vcc_lo, 0, v14, vcc_lo
	v_add_co_u32 v8, vcc_lo, v9, v8
	v_add_co_ci_u32_e32 v9, vcc_lo, 0, v10, vcc_lo
	v_add_co_u32 v4, vcc_lo, v4, v8
	v_add_co_ci_u32_e32 v11, vcc_lo, v7, v9, vcc_lo
	v_mul_hi_u32 v13, v5, v4
	v_mad_u64_u32 v[9:10], null, v6, v4, 0
	v_mad_u64_u32 v[7:8], null, v5, v11, 0
	;; [unrolled: 1-line block ×3, first 2 shown]
	v_add_co_u32 v4, vcc_lo, v13, v7
	v_add_co_ci_u32_e32 v7, vcc_lo, 0, v8, vcc_lo
	v_add_co_u32 v4, vcc_lo, v4, v9
	v_add_co_ci_u32_e32 v4, vcc_lo, v7, v10, vcc_lo
	v_add_co_ci_u32_e32 v7, vcc_lo, 0, v12, vcc_lo
	v_add_co_u32 v4, vcc_lo, v4, v11
	v_add_co_ci_u32_e32 v9, vcc_lo, 0, v7, vcc_lo
	v_mul_lo_u32 v10, s25, v4
	v_mad_u64_u32 v[7:8], null, s24, v4, 0
	v_mul_lo_u32 v11, s24, v9
	v_sub_co_u32 v7, vcc_lo, v5, v7
	v_add3_u32 v8, v8, v11, v10
	v_sub_nc_u32_e32 v10, v6, v8
	v_subrev_co_ci_u32_e64 v10, s0, s25, v10, vcc_lo
	v_add_co_u32 v11, s0, v4, 2
	v_add_co_ci_u32_e64 v12, s0, 0, v9, s0
	v_sub_co_u32 v13, s0, v7, s24
	v_sub_co_ci_u32_e32 v8, vcc_lo, v6, v8, vcc_lo
	v_subrev_co_ci_u32_e64 v10, s0, 0, v10, s0
	v_cmp_le_u32_e32 vcc_lo, s24, v13
	v_cmp_eq_u32_e64 s0, s25, v8
	v_cndmask_b32_e64 v13, 0, -1, vcc_lo
	v_cmp_le_u32_e32 vcc_lo, s25, v10
	v_cndmask_b32_e64 v14, 0, -1, vcc_lo
	v_cmp_le_u32_e32 vcc_lo, s24, v7
	;; [unrolled: 2-line block ×3, first 2 shown]
	v_cndmask_b32_e64 v15, 0, -1, vcc_lo
	v_cmp_eq_u32_e32 vcc_lo, s25, v10
	v_cndmask_b32_e64 v7, v15, v7, s0
	v_cndmask_b32_e32 v10, v14, v13, vcc_lo
	v_add_co_u32 v13, vcc_lo, v4, 1
	v_add_co_ci_u32_e32 v14, vcc_lo, 0, v9, vcc_lo
	v_cmp_ne_u32_e32 vcc_lo, 0, v10
	v_cndmask_b32_e32 v8, v14, v12, vcc_lo
	v_cndmask_b32_e32 v10, v13, v11, vcc_lo
	v_cmp_ne_u32_e32 vcc_lo, 0, v7
	v_cndmask_b32_e32 v47, v9, v8, vcc_lo
	v_cndmask_b32_e32 v46, v4, v10, vcc_lo
.LBB0_4:                                ;   in Loop: Header=BB0_2 Depth=1
	s_andn2_saveexec_b32 s0, s1
	s_cbranch_execz .LBB0_6
; %bb.5:                                ;   in Loop: Header=BB0_2 Depth=1
	v_cvt_f32_u32_e32 v4, s24
	s_sub_i32 s1, 0, s24
	v_mov_b32_e32 v47, v3
	v_rcp_iflag_f32_e32 v4, v4
	v_mul_f32_e32 v4, 0x4f7ffffe, v4
	v_cvt_u32_f32_e32 v4, v4
	v_mul_lo_u32 v7, s1, v4
	v_mul_hi_u32 v7, v4, v7
	v_add_nc_u32_e32 v4, v4, v7
	v_mul_hi_u32 v4, v5, v4
	v_mul_lo_u32 v7, v4, s24
	v_add_nc_u32_e32 v8, 1, v4
	v_sub_nc_u32_e32 v7, v5, v7
	v_subrev_nc_u32_e32 v9, s24, v7
	v_cmp_le_u32_e32 vcc_lo, s24, v7
	v_cndmask_b32_e32 v7, v7, v9, vcc_lo
	v_cndmask_b32_e32 v4, v4, v8, vcc_lo
	v_cmp_le_u32_e32 vcc_lo, s24, v7
	v_add_nc_u32_e32 v8, 1, v4
	v_cndmask_b32_e32 v46, v4, v8, vcc_lo
.LBB0_6:                                ;   in Loop: Header=BB0_2 Depth=1
	s_or_b32 exec_lo, exec_lo, s0
	v_mul_lo_u32 v4, v47, s24
	v_mul_lo_u32 v9, v46, s25
	s_load_dwordx2 s[0:1], s[6:7], 0x0
	v_mad_u64_u32 v[7:8], null, v46, s24, 0
	s_load_dwordx2 s[24:25], s[2:3], 0x0
	s_add_u32 s22, s22, 1
	s_addc_u32 s23, s23, 0
	s_add_u32 s2, s2, 8
	s_addc_u32 s3, s3, 0
	s_add_u32 s6, s6, 8
	v_add3_u32 v4, v8, v9, v4
	v_sub_co_u32 v5, vcc_lo, v5, v7
	s_addc_u32 s7, s7, 0
	s_add_u32 s20, s20, 8
	v_sub_co_ci_u32_e32 v4, vcc_lo, v6, v4, vcc_lo
	s_addc_u32 s21, s21, 0
	s_waitcnt lgkmcnt(0)
	v_mul_lo_u32 v6, s0, v4
	v_mul_lo_u32 v7, s1, v5
	v_mad_u64_u32 v[1:2], null, s0, v5, v[1:2]
	v_mul_lo_u32 v4, s24, v4
	v_mul_lo_u32 v8, s25, v5
	v_mad_u64_u32 v[44:45], null, s24, v5, v[44:45]
	v_cmp_ge_u64_e64 s0, s[22:23], s[14:15]
	v_add3_u32 v2, v7, v2, v6
	v_add3_u32 v45, v8, v45, v4
	s_and_b32 vcc_lo, exec_lo, s0
	s_cbranch_vccnz .LBB0_9
; %bb.7:                                ;   in Loop: Header=BB0_2 Depth=1
	v_mov_b32_e32 v5, v46
	v_mov_b32_e32 v6, v47
	s_branch .LBB0_2
.LBB0_8:
	v_mov_b32_e32 v45, v2
	v_mov_b32_e32 v47, v6
	;; [unrolled: 1-line block ×4, first 2 shown]
.LBB0_9:
	s_load_dwordx2 s[0:1], s[4:5], 0x28
	v_mul_hi_u32 v5, 0x295fad5, v0
	s_lshl_b64 s[4:5], s[14:15], 3
                                        ; implicit-def: $vgpr53
                                        ; implicit-def: $vgpr3_vgpr4
	s_add_u32 s2, s18, s4
	s_addc_u32 s3, s19, s5
	s_waitcnt lgkmcnt(0)
	v_cmp_gt_u64_e32 vcc_lo, s[0:1], v[46:47]
	v_cmp_le_u64_e64 s0, s[0:1], v[46:47]
	s_and_saveexec_b32 s1, s0
	s_xor_b32 s0, exec_lo, s1
; %bb.10:
	v_mul_u32_u24_e32 v1, 0x63, v5
	v_mov_b32_e32 v54, 0
                                        ; implicit-def: $vgpr5
	v_sub_nc_u32_e32 v53, v0, v1
                                        ; implicit-def: $vgpr0
                                        ; implicit-def: $vgpr1_vgpr2
	v_mov_b32_e32 v3, v53
	v_mov_b32_e32 v4, v54
; %bb.11:
	s_or_saveexec_b32 s1, s0
	s_load_dwordx2 s[2:3], s[2:3], 0x0
                                        ; implicit-def: $vgpr48
	s_xor_b32 exec_lo, exec_lo, s1
	s_cbranch_execz .LBB0_15
; %bb.12:
	s_add_u32 s4, s16, s4
	s_addc_u32 s5, s17, s5
	v_mul_u32_u24_e32 v5, 0x63, v5
	s_load_dwordx2 s[4:5], s[4:5], 0x0
	v_lshlrev_b64 v[1:2], 3, v[1:2]
	v_mov_b32_e32 v54, 0
	v_sub_nc_u32_e32 v53, v0, v5
	v_lshlrev_b32_e32 v42, 3, v53
	s_waitcnt lgkmcnt(0)
	v_mul_lo_u32 v6, s5, v46
	v_mul_lo_u32 v7, s4, v47
	v_mad_u64_u32 v[3:4], null, s4, v46, 0
	s_mov_b32 s4, exec_lo
	v_add3_u32 v4, v4, v7, v6
	v_lshlrev_b64 v[3:4], 3, v[3:4]
	v_add_co_u32 v0, s0, s8, v3
	v_add_co_ci_u32_e64 v3, s0, s9, v4, s0
	v_add_co_u32 v0, s0, v0, v1
	v_add_co_ci_u32_e64 v1, s0, v3, v2, s0
	;; [unrolled: 2-line block ×9, first 2 shown]
	s_clause 0x11
	global_load_dwordx2 v[16:17], v[2:3], off
	global_load_dwordx2 v[18:19], v[2:3], off offset:792
	global_load_dwordx2 v[20:21], v[2:3], off offset:1584
	;; [unrolled: 1-line block ×17, first 2 shown]
	v_add_nc_u32_e32 v2, 0, v42
	v_mov_b32_e32 v3, v53
	v_mov_b32_e32 v4, v54
	v_add_nc_u32_e32 v15, 0x400, v2
	v_add_nc_u32_e32 v42, 0x800, v2
	;; [unrolled: 1-line block ×8, first 2 shown]
	s_waitcnt vmcnt(16)
	ds_write2_b64 v2, v[16:17], v[18:19] offset1:99
	s_waitcnt vmcnt(14)
	ds_write2_b64 v15, v[20:21], v[22:23] offset0:70 offset1:169
	s_waitcnt vmcnt(12)
	ds_write2_b64 v42, v[24:25], v[26:27] offset0:140 offset1:239
	;; [unrolled: 2-line block ×8, first 2 shown]
	v_cmpx_eq_u32_e32 0x62, v53
	s_cbranch_execz .LBB0_14
; %bb.13:
	v_add_co_u32 v0, s0, 0x3000, v0
	v_add_co_ci_u32_e64 v1, s0, 0, v1, s0
	v_mov_b32_e32 v3, 0x62
	v_mov_b32_e32 v4, 0
	;; [unrolled: 1-line block ×3, first 2 shown]
	global_load_dwordx2 v[0:1], v[0:1], off offset:1968
	s_waitcnt vmcnt(0)
	ds_write_b64 v54, v[0:1] offset:14256
.LBB0_14:
	s_or_b32 exec_lo, exec_lo, s4
	v_mov_b32_e32 v48, v53
.LBB0_15:
	s_or_b32 exec_lo, exec_lo, s1
	v_lshlrev_b32_e32 v0, 3, v53
	s_waitcnt lgkmcnt(0)
	s_barrier
	buffer_gl0_inv
	v_lshlrev_b64 v[49:50], 3, v[3:4]
	v_add_nc_u32_e32 v55, 0, v0
	v_sub_nc_u32_e32 v2, 0, v0
	s_add_u32 s1, s12, 0x3758
	s_addc_u32 s4, s13, 0
	s_mov_b32 s5, exec_lo
	ds_read_b32 v5, v55
	ds_read_b32 v6, v2 offset:14256
	s_waitcnt lgkmcnt(0)
	v_add_f32_e32 v0, v6, v5
	v_sub_f32_e32 v1, v5, v6
	v_cmpx_ne_u32_e32 0, v53
	s_xor_b32 s5, exec_lo, s5
	s_cbranch_execz .LBB0_17
; %bb.16:
	v_add_co_u32 v0, s0, s1, v49
	v_add_co_ci_u32_e64 v1, s0, s4, v50, s0
	v_add_f32_e32 v7, v6, v5
	v_sub_f32_e32 v8, v5, v6
	global_load_dwordx2 v[3:4], v[0:1], off
	ds_read_b32 v0, v2 offset:14260
	ds_read_b32 v1, v55 offset:4
	s_waitcnt lgkmcnt(0)
	v_add_f32_e32 v9, v0, v1
	v_sub_f32_e32 v0, v1, v0
	s_waitcnt vmcnt(0)
	v_fma_f32 v5, -v8, v4, v7
	v_fma_f32 v6, v9, v4, -v0
	v_fma_f32 v10, v8, v4, v7
	v_fma_f32 v1, v9, v4, v0
	v_fmac_f32_e32 v5, v3, v9
	v_fmac_f32_e32 v6, v8, v3
	v_fma_f32 v0, -v3, v9, v10
	v_fmac_f32_e32 v1, v8, v3
	ds_write_b64 v2, v[5:6] offset:14256
.LBB0_17:
	s_andn2_saveexec_b32 s0, s5
	s_cbranch_execz .LBB0_19
; %bb.18:
	v_mov_b32_e32 v5, 0
	ds_read_b64 v[3:4], v5 offset:7128
	s_waitcnt lgkmcnt(0)
	v_add_f32_e32 v3, v3, v3
	v_mul_f32_e32 v4, -2.0, v4
	ds_write_b64 v5, v[3:4] offset:7128
.LBB0_19:
	s_or_b32 exec_lo, exec_lo, s0
	v_mov_b32_e32 v54, 0
	v_add_nc_u32_e32 v56, 0x400, v55
	v_add_nc_u32_e32 v58, 0x3000, v55
	;; [unrolled: 1-line block ×4, first 2 shown]
	v_lshlrev_b64 v[51:52], 3, v[53:54]
	v_add_nc_u32_e32 v60, 0x1000, v55
	v_add_nc_u32_e32 v61, 0x1800, v55
	;; [unrolled: 1-line block ×3, first 2 shown]
	v_mad_u32_u24 v63, 0x58, v53, 0
	v_add_co_u32 v3, s0, s1, v51
	v_add_co_ci_u32_e64 v4, s0, s4, v52, s0
	s_clause 0x1
	global_load_dwordx2 v[5:6], v[3:4], off offset:792
	global_load_dwordx2 v[7:8], v[3:4], off offset:1584
	v_add_co_u32 v9, s0, 0x800, v3
	v_add_co_ci_u32_e64 v10, s0, 0, v4, s0
	s_clause 0x2
	global_load_dwordx2 v[11:12], v[9:10], off offset:328
	global_load_dwordx2 v[13:14], v[9:10], off offset:1120
	;; [unrolled: 1-line block ×3, first 2 shown]
	v_add_co_u32 v15, s0, 0x1000, v3
	v_add_co_ci_u32_e64 v16, s0, 0, v4, s0
	s_clause 0x1
	global_load_dwordx2 v[17:18], v[15:16], off offset:656
	global_load_dwordx2 v[15:16], v[15:16], off offset:1448
	v_add_co_u32 v3, s0, 0x1800, v3
	v_add_co_ci_u32_e64 v4, s0, 0, v4, s0
	ds_write_b64 v55, v[0:1]
	ds_read_b64 v[0:1], v55 offset:792
	ds_read_b64 v[19:20], v2 offset:13464
	v_cmp_gt_u32_e64 s0, 63, v53
	global_load_dwordx2 v[3:4], v[3:4], off offset:192
	s_waitcnt lgkmcnt(0)
	v_add_f32_e32 v21, v0, v19
	v_add_f32_e32 v22, v20, v1
	v_sub_f32_e32 v23, v0, v19
	v_sub_f32_e32 v0, v1, v20
	s_waitcnt vmcnt(7)
	v_fma_f32 v24, v23, v6, v21
	v_fma_f32 v1, v22, v6, v0
	v_fma_f32 v19, -v23, v6, v21
	v_fma_f32 v20, v22, v6, -v0
	v_fma_f32 v0, -v5, v22, v24
	v_fmac_f32_e32 v1, v23, v5
	v_fmac_f32_e32 v19, v5, v22
	;; [unrolled: 1-line block ×3, first 2 shown]
	v_add_nc_u32_e32 v24, 0x2000, v55
	ds_write_b64 v55, v[0:1] offset:792
	ds_write_b64 v2, v[19:20] offset:13464
	ds_read_b64 v[0:1], v55 offset:1584
	ds_read_b64 v[5:6], v2 offset:12672
	s_waitcnt lgkmcnt(0)
	v_add_f32_e32 v19, v0, v5
	v_add_f32_e32 v20, v6, v1
	v_sub_f32_e32 v21, v0, v5
	v_sub_f32_e32 v0, v1, v6
	s_waitcnt vmcnt(6)
	v_fma_f32 v22, v21, v8, v19
	v_fma_f32 v1, v20, v8, v0
	v_fma_f32 v5, -v21, v8, v19
	v_fma_f32 v6, v20, v8, -v0
	v_fma_f32 v0, -v7, v20, v22
	v_fmac_f32_e32 v1, v21, v7
	v_fmac_f32_e32 v5, v7, v20
	v_fmac_f32_e32 v6, v21, v7
	ds_write_b64 v55, v[0:1] offset:1584
	ds_write_b64 v2, v[5:6] offset:12672
	ds_read_b64 v[0:1], v55 offset:2376
	ds_read_b64 v[5:6], v2 offset:11880
	s_waitcnt lgkmcnt(0)
	v_add_f32_e32 v7, v0, v5
	v_add_f32_e32 v8, v6, v1
	v_sub_f32_e32 v19, v0, v5
	v_sub_f32_e32 v0, v1, v6
	s_waitcnt vmcnt(5)
	v_fma_f32 v20, v19, v12, v7
	v_fma_f32 v1, v8, v12, v0
	v_fma_f32 v5, -v19, v12, v7
	v_fma_f32 v6, v8, v12, -v0
	v_fma_f32 v0, -v11, v8, v20
	v_fmac_f32_e32 v1, v19, v11
	v_fmac_f32_e32 v5, v11, v8
	v_fmac_f32_e32 v6, v19, v11
	;; [unrolled: 18-line block ×5, first 2 shown]
	ds_write_b64 v55, v[0:1] offset:4752
	ds_write_b64 v2, v[5:6] offset:9504
	ds_read_b64 v[0:1], v55 offset:5544
	ds_read_b64 v[5:6], v2 offset:8712
	s_waitcnt lgkmcnt(0)
	v_add_f32_e32 v7, v0, v5
	v_add_f32_e32 v8, v6, v1
	v_sub_f32_e32 v9, v0, v5
	v_sub_f32_e32 v0, v1, v6
	s_waitcnt vmcnt(1)
	v_fma_f32 v10, v9, v16, v7
	v_fma_f32 v1, v8, v16, v0
	v_fma_f32 v5, -v9, v16, v7
	v_fma_f32 v6, v8, v16, -v0
	v_add_nc_u32_e32 v16, 0xc00, v55
	v_fma_f32 v0, -v15, v8, v10
	v_fmac_f32_e32 v1, v9, v15
	v_fmac_f32_e32 v5, v15, v8
	;; [unrolled: 1-line block ×3, first 2 shown]
	ds_write_b64 v55, v[0:1] offset:5544
	ds_write_b64 v2, v[5:6] offset:8712
	ds_read_b64 v[0:1], v55 offset:6336
	ds_read_b64 v[5:6], v2 offset:7920
	s_waitcnt lgkmcnt(0)
	v_add_f32_e32 v7, v0, v5
	v_add_f32_e32 v8, v6, v1
	v_sub_f32_e32 v9, v0, v5
	v_sub_f32_e32 v0, v1, v6
	s_waitcnt vmcnt(0)
	v_fma_f32 v10, v9, v4, v7
	v_fma_f32 v1, v8, v4, v0
	v_fma_f32 v5, -v9, v4, v7
	v_fma_f32 v6, v8, v4, -v0
	v_fma_f32 v0, -v3, v8, v10
	v_fmac_f32_e32 v1, v9, v3
	v_fmac_f32_e32 v5, v3, v8
	;; [unrolled: 1-line block ×3, first 2 shown]
	v_add_nc_u32_e32 v8, 0x2c00, v55
	ds_write_b64 v55, v[0:1] offset:6336
	ds_write_b64 v2, v[5:6] offset:7920
	s_waitcnt lgkmcnt(0)
	s_barrier
	buffer_gl0_inv
	s_barrier
	buffer_gl0_inv
	ds_read2_b64 v[4:7], v56 offset0:34 offset1:133
	ds_read2_b64 v[0:3], v58 offset0:84 offset1:183
	ds_read2_b64 v[12:15], v57 offset0:68 offset1:167
	ds_read2_b64 v[8:11], v8 offset0:50 offset1:149
	ds_read2_b64 v[20:23], v16 offset0:102 offset1:201
	ds_read2_b64 v[16:19], v59 offset0:16 offset1:115
	ds_read2_b64 v[24:27], v24 offset0:110 offset1:209
	ds_read2_b64 v[28:31], v60 offset0:136 offset1:235
	ds_read2_b64 v[32:35], v55 offset1:99
	ds_read2_b64 v[40:43], v61 offset0:42 offset1:141
	ds_read2_b64 v[36:39], v62 offset0:76 offset1:175
	s_waitcnt lgkmcnt(0)
	s_barrier
	buffer_gl0_inv
	v_add_f32_e32 v64, v0, v4
	v_add_f32_e32 v65, v1, v5
	v_sub_f32_e32 v66, v4, v0
	v_sub_f32_e32 v67, v5, v1
	v_add_f32_e32 v4, v32, v4
	v_add_f32_e32 v5, v33, v5
	;; [unrolled: 1-line block ×3, first 2 shown]
	v_sub_f32_e32 v71, v13, v9
	v_add_f32_e32 v73, v17, v21
	v_sub_f32_e32 v75, v21, v17
	v_sub_f32_e32 v76, v29, v25
	v_add_f32_e32 v78, v25, v29
	v_sub_f32_e32 v80, v41, v37
	v_add_f32_e32 v82, v37, v41
	v_mul_f32_e32 v84, 0xbf68dda4, v67
	v_mul_f32_e32 v85, 0x3ed4b147, v65
	;; [unrolled: 1-line block ×8, first 2 shown]
	v_add_f32_e32 v4, v4, v12
	v_add_f32_e32 v5, v5, v13
	v_add_f32_e32 v68, v8, v12
	v_sub_f32_e32 v70, v12, v8
	v_add_f32_e32 v72, v16, v20
	v_sub_f32_e32 v74, v20, v16
	v_add_f32_e32 v77, v24, v28
	v_sub_f32_e32 v79, v28, v24
	v_add_f32_e32 v81, v36, v40
	v_sub_f32_e32 v83, v40, v36
	v_mul_f32_e32 v86, 0xbf4178ce, v71
	v_mul_f32_e32 v87, 0xbf27a4f4, v69
	;; [unrolled: 1-line block ×42, first 2 shown]
	v_fmamk_f32 v12, v64, 0x3ed4b147, v84
	v_fmamk_f32 v13, v66, 0x3f68dda4, v85
	v_fmamk_f32 v132, v64, 0xbe11bafb, v94
	v_fmamk_f32 v134, v66, 0x3f7d64f0, v96
	v_fmamk_f32 v142, v64, 0xbf27a4f4, v104
	v_fmamk_f32 v144, v66, 0x3f4178ce, v106
	v_fmamk_f32 v152, v64, 0xbf75a155, v114
	v_fmamk_f32 v154, v66, 0x3e903f40, v116
	v_fma_f32 v104, 0xbf27a4f4, v64, -v104
	v_fmac_f32_e32 v106, 0xbf4178ce, v66
	v_fma_f32 v114, 0xbf75a155, v64, -v114
	v_fmac_f32_e32 v116, 0xbe903f40, v66
	;; [unrolled: 2-line block ×4, first 2 shown]
	v_add_f32_e32 v4, v4, v20
	v_add_f32_e32 v5, v5, v21
	v_fmamk_f32 v124, v68, 0xbf27a4f4, v86
	v_fmamk_f32 v125, v70, 0x3f4178ce, v87
	;; [unrolled: 1-line block ×32, first 2 shown]
	v_fma_f32 v105, 0xbe11bafb, v68, -v105
	v_fmac_f32_e32 v107, 0x3f7d64f0, v70
	v_fma_f32 v108, 0x3f575c64, v72, -v108
	v_fmac_f32_e32 v109, 0xbf0a6770, v74
	v_fma_f32 v110, 0xbf75a155, v77, -v110
	v_fmac_f32_e32 v111, 0xbe903f40, v79
	v_fma_f32 v112, 0x3ed4b147, v81, -v112
	v_fmac_f32_e32 v113, 0x3f68dda4, v83
	v_fma_f32 v115, 0x3f575c64, v68, -v115
	v_fmac_f32_e32 v117, 0x3f0a6770, v70
	v_fma_f32 v118, 0xbf27a4f4, v72, -v118
	v_fmac_f32_e32 v119, 0xbf4178ce, v74
	v_fma_f32 v120, 0x3ed4b147, v77, -v120
	v_fmac_f32_e32 v121, 0x3f68dda4, v79
	v_fma_f32 v122, 0xbe11bafb, v81, -v122
	v_fmac_f32_e32 v123, 0xbf7d64f0, v83
	v_fma_f32 v86, 0xbf27a4f4, v68, -v86
	v_fmac_f32_e32 v87, 0xbf4178ce, v70
	v_fma_f32 v88, 0xbf75a155, v72, -v88
	v_fmac_f32_e32 v89, 0x3e903f40, v74
	v_fma_f32 v90, 0xbe11bafb, v77, -v90
	v_fmac_f32_e32 v91, 0x3f7d64f0, v79
	v_fma_f32 v92, 0x3f575c64, v81, -v92
	v_fmac_f32_e32 v93, 0x3f0a6770, v83
	v_fma_f32 v95, 0xbf75a155, v68, -v95
	v_fmac_f32_e32 v97, 0x3e903f40, v70
	v_fma_f32 v98, 0x3ed4b147, v72, -v98
	v_fmac_f32_e32 v99, 0x3f68dda4, v74
	v_fma_f32 v100, 0x3f575c64, v77, -v100
	v_fmac_f32_e32 v101, 0xbf0a6770, v79
	v_fma_f32 v102, 0xbf27a4f4, v81, -v102
	v_fmac_f32_e32 v103, 0xbf4178ce, v83
	v_fmamk_f32 v162, v64, 0x3f575c64, v67
	v_fmamk_f32 v163, v68, 0x3ed4b147, v71
	;; [unrolled: 1-line block ×10, first 2 shown]
	v_fma_f32 v20, 0x3f575c64, v64, -v67
	v_fmac_f32_e32 v65, 0xbf0a6770, v66
	v_fma_f32 v21, 0x3ed4b147, v68, -v71
	v_fmac_f32_e32 v69, 0xbf68dda4, v70
	;; [unrolled: 2-line block ×5, first 2 shown]
	v_add_f32_e32 v13, v33, v13
	v_add_f32_e32 v68, v32, v132
	;; [unrolled: 1-line block ×114, first 2 shown]
	ds_write2_b64 v63, v[4:5], v[12:13] offset0:2 offset1:3
	ds_write2_b64 v63, v[20:21], v[24:25] offset0:4 offset1:5
	;; [unrolled: 1-line block ×4, first 2 shown]
	ds_write2_b64 v63, v[0:1], v[40:41] offset1:1
	ds_write_b64 v63, v[8:9] offset:80
	s_and_saveexec_b32 s1, s0
	s_cbranch_execz .LBB0_21
; %bb.20:
	v_add_f32_e32 v8, v3, v7
	v_sub_f32_e32 v20, v6, v2
	v_add_f32_e32 v12, v11, v15
	v_sub_f32_e32 v21, v14, v10
	v_add_f32_e32 v13, v19, v23
	v_mul_f32_e32 v16, 0xbf75a155, v8
	v_sub_f32_e32 v32, v7, v3
	v_mul_f32_e32 v28, 0x3f575c64, v12
	v_sub_f32_e32 v24, v22, v18
	v_add_f32_e32 v29, v2, v6
	v_fmamk_f32 v0, v20, 0x3e903f40, v16
	v_mul_f32_e32 v33, 0xbf27a4f4, v13
	v_fmamk_f32 v1, v21, 0xbf0a6770, v28
	v_sub_f32_e32 v36, v15, v11
	v_mul_f32_e32 v40, 0xbe903f40, v32
	v_add_f32_e32 v0, v35, v0
	v_add_f32_e32 v17, v27, v31
	v_fmamk_f32 v4, v24, 0x3f4178ce, v33
	v_add_f32_e32 v41, v10, v14
	v_mul_f32_e32 v63, 0x3f0a6770, v36
	v_add_f32_e32 v0, v1, v0
	v_fmamk_f32 v1, v29, 0xbf75a155, v40
	v_sub_f32_e32 v64, v23, v19
	v_sub_f32_e32 v25, v30, v26
	v_mul_f32_e32 v37, 0x3ed4b147, v17
	v_add_f32_e32 v0, v4, v0
	v_add_f32_e32 v65, v39, v43
	;; [unrolled: 1-line block ×3, first 2 shown]
	v_fmamk_f32 v4, v41, 0x3f575c64, v63
	v_add_f32_e32 v66, v18, v22
	v_mul_f32_e32 v67, 0xbf4178ce, v64
	v_sub_f32_e32 v69, v31, v27
	v_fmamk_f32 v5, v25, 0xbf68dda4, v37
	v_mul_f32_e32 v68, 0xbe11bafb, v65
	v_sub_f32_e32 v70, v42, v38
	v_add_f32_e32 v1, v4, v1
	v_fmamk_f32 v4, v66, 0xbf27a4f4, v67
	v_add_f32_e32 v71, v26, v30
	v_mul_f32_e32 v72, 0x3f68dda4, v69
	v_add_f32_e32 v0, v5, v0
	v_fmamk_f32 v5, v70, 0x3f7d64f0, v68
	v_add_f32_e32 v4, v4, v1
	v_mul_f32_e32 v73, 0xbf27a4f4, v8
	v_fmamk_f32 v9, v71, 0x3ed4b147, v72
	v_mul_f32_e32 v76, 0xbe11bafb, v12
	v_add_f32_e32 v1, v5, v0
	v_mul_f32_e32 v79, 0xbf4178ce, v32
	v_mul_f32_e32 v80, 0x3f575c64, v13
	v_add_f32_e32 v0, v9, v4
	v_fmamk_f32 v4, v20, 0x3f4178ce, v73
	v_fmamk_f32 v5, v21, 0xbf7d64f0, v76
	;; [unrolled: 1-line block ×3, first 2 shown]
	v_mul_f32_e32 v82, 0x3f7d64f0, v36
	v_sub_f32_e32 v75, v43, v39
	v_add_f32_e32 v4, v35, v4
	v_mul_f32_e32 v83, 0xbf75a155, v17
	v_add_f32_e32 v81, v34, v81
	v_fmamk_f32 v84, v41, 0xbe11bafb, v82
	v_mul_f32_e32 v85, 0xbf0a6770, v64
	v_add_f32_e32 v4, v5, v4
	v_fmamk_f32 v5, v24, 0x3f0a6770, v80
	v_add_f32_e32 v77, v38, v42
	v_mul_f32_e32 v78, 0xbf7d64f0, v75
	v_mul_f32_e32 v86, 0x3ed4b147, v65
	v_add_f32_e32 v81, v84, v81
	v_add_f32_e32 v4, v5, v4
	v_fmamk_f32 v5, v25, 0x3e903f40, v83
	v_fmamk_f32 v84, v66, 0x3f575c64, v85
	v_mul_f32_e32 v87, 0xbe903f40, v69
	v_fmamk_f32 v9, v77, 0xbe11bafb, v78
	v_mul_f32_e32 v88, 0xbe11bafb, v8
	v_add_f32_e32 v4, v5, v4
	v_fmamk_f32 v5, v70, 0xbf68dda4, v86
	v_add_f32_e32 v81, v84, v81
	v_fmamk_f32 v84, v71, 0xbf75a155, v87
	v_add_f32_e32 v0, v9, v0
	v_mul_f32_e32 v89, 0xbf75a155, v12
	v_add_f32_e32 v5, v5, v4
	v_fmamk_f32 v4, v20, 0x3f7d64f0, v88
	v_add_f32_e32 v9, v84, v81
	v_mul_f32_e32 v84, 0xbf7d64f0, v32
	v_fmamk_f32 v90, v21, 0xbe903f40, v89
	v_mul_f32_e32 v91, 0x3ed4b147, v13
	v_add_f32_e32 v4, v35, v4
	v_mul_f32_e32 v94, 0x3e903f40, v36
	v_fmamk_f32 v93, v29, 0xbe11bafb, v84
	v_mul_f32_e32 v81, 0x3f68dda4, v75
	v_mul_f32_e32 v95, 0x3f575c64, v17
	v_add_f32_e32 v4, v90, v4
	v_fmamk_f32 v90, v24, 0xbf68dda4, v91
	v_add_f32_e32 v93, v34, v93
	v_fmamk_f32 v96, v41, 0xbf75a155, v94
	v_mul_f32_e32 v97, 0x3f68dda4, v64
	v_fmamk_f32 v92, v77, 0x3ed4b147, v81
	v_add_f32_e32 v4, v90, v4
	v_fmamk_f32 v90, v25, 0x3f0a6770, v95
	v_mul_f32_e32 v98, 0xbf27a4f4, v65
	v_add_f32_e32 v93, v96, v93
	v_fmamk_f32 v96, v66, 0x3ed4b147, v97
	v_mul_f32_e32 v99, 0xbf0a6770, v69
	v_mul_f32_e32 v100, 0x3ed4b147, v8
	v_add_f32_e32 v90, v90, v4
	v_fmamk_f32 v101, v70, 0x3f4178ce, v98
	v_add_f32_e32 v93, v96, v93
	v_fmamk_f32 v96, v71, 0x3f575c64, v99
	;; [unrolled: 2-line block ×3, first 2 shown]
	v_mul_f32_e32 v102, 0xbf27a4f4, v12
	v_add_f32_e32 v9, v101, v90
	v_add_f32_e32 v90, v96, v93
	v_mul_f32_e32 v93, 0xbf68dda4, v32
	v_add_f32_e32 v92, v35, v92
	v_fmamk_f32 v96, v21, 0x3f4178ce, v102
	v_mul_f32_e32 v101, 0xbf75a155, v13
	v_mul_f32_e32 v105, 0xbf4178ce, v36
	v_fmamk_f32 v104, v29, 0x3ed4b147, v93
	v_mul_f32_e32 v106, 0xbe11bafb, v17
	v_add_f32_e32 v92, v96, v92
	v_fmamk_f32 v96, v24, 0xbe903f40, v101
	v_fmamk_f32 v107, v41, 0xbf27a4f4, v105
	v_add_f32_e32 v104, v34, v104
	v_mul_f32_e32 v108, 0x3e903f40, v64
	v_mul_f32_e32 v110, 0x3f7d64f0, v69
	v_add_f32_e32 v92, v96, v92
	v_fmamk_f32 v96, v25, 0xbf7d64f0, v106
	v_add_f32_e32 v104, v107, v104
	v_fmamk_f32 v107, v66, 0xbf75a155, v108
	v_add_f32_e32 v7, v35, v7
	v_mul_f32_e32 v103, 0xbf4178ce, v75
	v_add_f32_e32 v92, v96, v92
	v_mul_f32_e32 v96, 0x3f575c64, v8
	v_mul_f32_e32 v111, 0x3f575c64, v65
	v_add_f32_e32 v8, v107, v104
	v_fmamk_f32 v104, v71, 0xbe11bafb, v110
	v_mul_f32_e32 v107, 0x3f0a6770, v75
	v_fmamk_f32 v112, v20, 0x3f0a6770, v96
	v_mul_f32_e32 v113, 0x3ed4b147, v12
	v_add_f32_e32 v6, v34, v6
	v_add_f32_e32 v7, v7, v15
	v_fmamk_f32 v109, v77, 0xbf27a4f4, v103
	v_fmamk_f32 v12, v70, 0xbf0a6770, v111
	v_add_f32_e32 v104, v104, v8
	v_fmamk_f32 v114, v77, 0x3f575c64, v107
	v_add_f32_e32 v112, v35, v112
	v_fmamk_f32 v115, v21, 0x3f68dda4, v113
	v_mul_f32_e32 v116, 0xbe11bafb, v13
	v_add_f32_e32 v6, v6, v14
	v_add_f32_e32 v7, v7, v23
	;; [unrolled: 1-line block ×6, first 2 shown]
	v_fmamk_f32 v92, v24, 0x3f7d64f0, v116
	v_mul_f32_e32 v104, 0xbf27a4f4, v17
	v_mul_f32_e32 v32, 0xbf0a6770, v32
	v_add_f32_e32 v6, v6, v22
	v_add_f32_e32 v7, v7, v31
	;; [unrolled: 1-line block ×3, first 2 shown]
	v_fmamk_f32 v90, v25, 0x3f4178ce, v104
	v_fmamk_f32 v14, v29, 0x3f575c64, v32
	v_mul_f32_e32 v36, 0xbf68dda4, v36
	v_add_f32_e32 v6, v6, v30
	v_add_f32_e32 v7, v7, v43
	v_add_f32_e32 v15, v90, v17
	v_add_f32_e32 v14, v34, v14
	v_fmamk_f32 v17, v41, 0x3ed4b147, v36
	v_mul_f32_e32 v22, 0xbf7d64f0, v64
	v_add_f32_e32 v6, v6, v42
	v_add_f32_e32 v7, v7, v39
	v_mul_f32_e32 v31, 0xbf4178ce, v69
	v_add_f32_e32 v14, v17, v14
	v_fmamk_f32 v17, v66, 0xbe11bafb, v22
	v_add_f32_e32 v6, v6, v38
	v_fmac_f32_e32 v16, 0xbe903f40, v20
	v_add_f32_e32 v7, v7, v27
	v_mul_f32_e32 v38, 0xbe903f40, v75
	v_add_f32_e32 v14, v17, v14
	v_fmamk_f32 v17, v71, 0xbf27a4f4, v31
	v_add_f32_e32 v6, v6, v26
	v_add_f32_e32 v16, v35, v16
	v_fmac_f32_e32 v28, 0x3f0a6770, v21
	v_add_f32_e32 v19, v7, v19
	v_mul_f32_e32 v23, 0xbf75a155, v65
	v_add_f32_e32 v14, v17, v14
	v_fmamk_f32 v17, v77, 0xbf75a155, v38
	v_add_f32_e32 v18, v6, v18
	v_add_f32_e32 v16, v28, v16
	v_fmac_f32_e32 v33, 0xbf4178ce, v24
	v_add_f32_e32 v11, v19, v11
	v_fmamk_f32 v30, v70, 0x3e903f40, v23
	v_add_f32_e32 v6, v17, v14
	v_add_f32_e32 v10, v18, v10
	;; [unrolled: 1-line block ×3, first 2 shown]
	v_fmac_f32_e32 v37, 0x3f68dda4, v25
	v_add_f32_e32 v3, v11, v3
	v_fma_f32 v11, 0xbf75a155, v29, -v40
	v_add_f32_e32 v7, v30, v15
	v_add_f32_e32 v2, v10, v2
	v_fmac_f32_e32 v73, 0xbf4178ce, v20
	v_add_f32_e32 v10, v37, v14
	v_fmac_f32_e32 v68, 0xbf7d64f0, v70
	v_add_f32_e32 v14, v34, v11
	v_fma_f32 v15, 0x3f575c64, v41, -v63
	v_add_f32_e32 v16, v35, v73
	v_fmac_f32_e32 v76, 0x3f7d64f0, v21
	v_add_f32_e32 v11, v68, v10
	v_fma_f32 v10, 0xbf27a4f4, v29, -v79
	v_add_f32_e32 v14, v15, v14
	v_fma_f32 v15, 0xbf27a4f4, v66, -v67
	v_add_f32_e32 v16, v76, v16
	v_fmac_f32_e32 v80, 0xbf0a6770, v24
	v_add_f32_e32 v10, v34, v10
	v_fma_f32 v17, 0xbe11bafb, v41, -v82
	;; [unrolled: 6-line block ×5, first 2 shown]
	v_add_f32_e32 v14, v34, v14
	v_fmac_f32_e32 v102, 0xbf4178ce, v21
	v_add_f32_e32 v26, v35, v100
	v_fma_f32 v19, 0x3ed4b147, v77, -v81
	v_fmac_f32_e32 v101, 0x3e903f40, v24
	v_add_f32_e32 v14, v18, v14
	v_fma_f32 v18, 0x3ed4b147, v66, -v97
	v_add_f32_e32 v26, v102, v26
	v_fma_f32 v27, 0xbf27a4f4, v77, -v103
	v_fmac_f32_e32 v106, 0x3f7d64f0, v25
	v_fmac_f32_e32 v96, 0xbf0a6770, v20
	v_add_f32_e32 v14, v18, v14
	v_fma_f32 v18, 0x3f575c64, v71, -v99
	v_add_f32_e32 v26, v101, v26
	v_fmac_f32_e32 v88, 0xbf7d64f0, v20
	v_fma_f32 v20, 0x3f575c64, v29, -v32
	v_fmac_f32_e32 v113, 0xbf68dda4, v21
	v_add_f32_e32 v18, v18, v14
	v_add_f32_e32 v14, v19, v16
	;; [unrolled: 1-line block ×3, first 2 shown]
	v_fma_f32 v26, 0xbf27a4f4, v41, -v105
	v_fmac_f32_e32 v89, 0x3e903f40, v21
	v_add_f32_e32 v16, v27, v18
	v_fma_f32 v18, 0x3ed4b147, v29, -v93
	v_add_f32_e32 v27, v35, v96
	v_add_f32_e32 v20, v34, v20
	v_fma_f32 v21, 0x3ed4b147, v41, -v36
	v_add_f32_e32 v17, v35, v88
	v_add_f32_e32 v18, v34, v18
	;; [unrolled: 1-line block ×3, first 2 shown]
	v_fmac_f32_e32 v116, 0xbf7d64f0, v24
	v_add_f32_e32 v20, v21, v20
	v_fma_f32 v21, 0xbe11bafb, v66, -v22
	v_add_f32_e32 v18, v26, v18
	v_fma_f32 v26, 0xbf75a155, v66, -v108
	v_add_f32_e32 v17, v89, v17
	v_fmac_f32_e32 v91, 0x3f68dda4, v24
	v_mul_u32_u24_e32 v74, 0x58, v53
	v_fma_f32 v22, 0xbe11bafb, v71, -v110
	v_add_f32_e32 v18, v26, v18
	v_add_f32_e32 v24, v116, v27
	v_fmac_f32_e32 v104, 0xbf4178ce, v25
	v_add_f32_e32 v20, v21, v20
	v_fma_f32 v21, 0xbf27a4f4, v71, -v31
	v_add_f32_e32 v17, v91, v17
	v_fmac_f32_e32 v95, 0xbf0a6770, v25
	v_add_f32_e32 v18, v22, v18
	v_fma_f32 v22, 0x3f575c64, v77, -v107
	v_add_nc_u32_e32 v26, 0, v74
	v_add_f32_e32 v24, v104, v24
	v_fmac_f32_e32 v23, 0xbe903f40, v70
	v_add_f32_e32 v20, v21, v20
	v_fma_f32 v25, 0xbf75a155, v77, -v38
	v_add_f32_e32 v17, v95, v17
	v_fmac_f32_e32 v98, 0xbf4178ce, v70
	v_fmac_f32_e32 v111, 0x3f0a6770, v70
	v_add_f32_e32 v18, v22, v18
	v_add_nc_u32_e32 v22, 0x2208, v26
	v_add_f32_e32 v21, v23, v24
	v_add_nc_u32_e32 v23, 0x2218, v26
	v_add_nc_u32_e32 v24, 0x2228, v26
	v_add_f32_e32 v20, v25, v20
	v_add_nc_u32_e32 v25, 0x2238, v26
	v_add_f32_e32 v17, v98, v17
	v_add_f32_e32 v19, v111, v19
	v_add_nc_u32_e32 v27, 0x2248, v26
	ds_write2_b64 v22, v[2:3], v[6:7] offset1:1
	ds_write2_b64 v23, v[12:13], v[8:9] offset1:1
	;; [unrolled: 1-line block ×5, first 2 shown]
	ds_write_b64 v26, v[20:21] offset:8792
.LBB0_21:
	s_or_b32 exec_lo, exec_lo, s1
	v_add_nc_u32_e32 v1, 0xc6, v53
	v_mov_b32_e32 v0, 0xba2f
	v_add_nc_u32_e32 v5, 0x129, v53
	v_add_nc_u32_e32 v3, 0x18c, v53
	;; [unrolled: 1-line block ×3, first 2 shown]
	v_mov_b32_e32 v7, 4
	v_mul_u32_u24_sdwa v2, v1, v0 dst_sel:DWORD dst_unused:UNUSED_PAD src0_sel:WORD_0 src1_sel:DWORD
	v_mul_u32_u24_sdwa v6, v5, v0 dst_sel:DWORD dst_unused:UNUSED_PAD src0_sel:WORD_0 src1_sel:DWORD
	s_waitcnt lgkmcnt(0)
	s_barrier
	buffer_gl0_inv
	v_lshrrev_b32_e32 v87, 19, v2
	v_mul_u32_u24_sdwa v2, v3, v0 dst_sel:DWORD dst_unused:UNUSED_PAD src0_sel:WORD_0 src1_sel:DWORD
	v_lshrrev_b32_e32 v88, 19, v6
	v_mul_u32_u24_sdwa v0, v4, v0 dst_sel:DWORD dst_unused:UNUSED_PAD src0_sel:WORD_0 src1_sel:DWORD
	v_and_b32_e32 v95, 0xff, v53
	v_mul_lo_u16 v6, v87, 11
	v_lshrrev_b32_e32 v89, 19, v2
	v_mul_lo_u16 v2, v88, 11
	v_lshrrev_b32_e32 v91, 19, v0
	v_mov_b32_e32 v102, 0x108
	v_sub_nc_u16 v90, v1, v6
	v_mul_lo_u16 v0, v89, 11
	v_sub_nc_u16 v92, v5, v2
	v_mul_lo_u16 v6, v91, 11
	v_mul_u32_u24_e32 v87, 0x108, v87
	v_lshlrev_b32_sdwa v2, v7, v90 dst_sel:DWORD dst_unused:UNUSED_PAD src0_sel:DWORD src1_sel:WORD_0
	v_sub_nc_u16 v93, v3, v0
	v_lshlrev_b32_sdwa v0, v7, v92 dst_sel:DWORD dst_unused:UNUSED_PAD src0_sel:DWORD src1_sel:WORD_0
	v_sub_nc_u16 v94, v4, v6
	v_mul_u32_u24_e32 v88, 0x108, v88
	global_load_dwordx4 v[8:11], v2, s[12:13]
	v_mul_u32_u24_e32 v91, 0x108, v91
	global_load_dwordx4 v[12:15], v0, s[12:13]
	v_lshlrev_b32_sdwa v2, v7, v93 dst_sel:DWORD dst_unused:UNUSED_PAD src0_sel:DWORD src1_sel:WORD_0
	v_lshlrev_b32_sdwa v0, v7, v94 dst_sel:DWORD dst_unused:UNUSED_PAD src0_sel:DWORD src1_sel:WORD_0
	s_clause 0x1
	global_load_dwordx4 v[16:19], v2, s[12:13]
	global_load_dwordx4 v[20:23], v0, s[12:13]
	v_add_nc_u32_e32 v2, 0x63, v53
	v_mul_lo_u16 v0, 0x75, v95
	v_mov_b32_e32 v101, 0xf83f
	v_mul_lo_u16 v95, 0xf9, v95
	v_mul_u32_u24_e32 v89, 0x108, v89
	v_and_b32_e32 v96, 0xff, v2
	v_lshrrev_b16 v0, 8, v0
	v_mul_u32_u24_sdwa v103, v1, v101 dst_sel:DWORD dst_unused:UNUSED_PAD src0_sel:WORD_0 src1_sel:DWORD
	v_mul_u32_u24_sdwa v104, v5, v101 dst_sel:DWORD dst_unused:UNUSED_PAD src0_sel:WORD_0 src1_sel:DWORD
	v_mul_u32_u24_sdwa v105, v3, v101 dst_sel:DWORD dst_unused:UNUSED_PAD src0_sel:WORD_0 src1_sel:DWORD
	v_mul_lo_u16 v6, 0x75, v96
	v_sub_nc_u16 v24, v53, v0
	v_mul_lo_u16 v96, 0xf9, v96
	v_lshrrev_b16 v95, 13, v95
	v_mul_u32_u24_sdwa v101, v4, v101 dst_sel:DWORD dst_unused:UNUSED_PAD src0_sel:WORD_0 src1_sel:DWORD
	v_lshrrev_b16 v6, 8, v6
	v_lshrrev_b16 v24, 1, v24
	;; [unrolled: 1-line block ×3, first 2 shown]
	v_lshrrev_b32_e32 v103, 21, v103
	v_lshrrev_b32_e32 v104, 21, v104
	v_sub_nc_u16 v25, v2, v6
	v_and_b32_e32 v24, 0x7f, v24
	v_lshrrev_b32_e32 v105, 21, v105
	v_mul_lo_u16 v106, v95, 33
	v_lshrrev_b32_e32 v101, 21, v101
	v_lshrrev_b16 v25, 1, v25
	v_add_nc_u16 v0, v24, v0
	v_mul_lo_u16 v109, v96, 33
	v_mul_lo_u16 v107, v103, 33
	;; [unrolled: 1-line block ×3, first 2 shown]
	v_and_b32_e32 v24, 0x7f, v25
	v_lshrrev_b16 v97, 3, v0
	v_sub_nc_u16 v106, v53, v106
	v_sub_nc_u16 v109, v2, v109
	;; [unrolled: 1-line block ×3, first 2 shown]
	v_add_nc_u16 v0, v24, v6
	v_mul_lo_u16 v6, v97, 11
	v_lshlrev_b32_sdwa v110, v7, v106 dst_sel:DWORD dst_unused:UNUSED_PAD src0_sel:DWORD src1_sel:BYTE_0
	v_lshrrev_b16 v98, 3, v0
	v_sub_nc_u16 v99, v53, v6
	v_lshlrev_b32_e32 v53, 1, v53
	v_mul_lo_u16 v0, v98, 11
	v_lshlrev_b32_sdwa v6, v7, v99 dst_sel:DWORD dst_unused:UNUSED_PAD src0_sel:DWORD src1_sel:BYTE_0
	v_sub_nc_u16 v100, v2, v0
	global_load_dwordx4 v[24:27], v6, s[12:13]
	v_lshlrev_b32_sdwa v0, v7, v100 dst_sel:DWORD dst_unused:UNUSED_PAD src0_sel:DWORD src1_sel:BYTE_0
	global_load_dwordx4 v[28:31], v0, s[12:13]
	ds_read2_b64 v[32:35], v55 offset1:99
	ds_read2_b64 v[36:39], v60 offset0:82 offset1:181
	ds_read2_b64 v[40:43], v56 offset0:70 offset1:169
	;; [unrolled: 1-line block ×7, first 2 shown]
	v_mov_b32_e32 v6, 3
	v_add_nc_u32_e32 v0, 0x2400, v55
	v_lshlrev_b32_sdwa v90, v6, v90 dst_sel:DWORD dst_unused:UNUSED_PAD src0_sel:DWORD src1_sel:WORD_0
	v_lshlrev_b32_sdwa v92, v6, v92 dst_sel:DWORD dst_unused:UNUSED_PAD src0_sel:DWORD src1_sel:WORD_0
	;; [unrolled: 1-line block ×3, first 2 shown]
	ds_read2_b64 v[83:86], v0 offset0:36 offset1:135
	v_lshlrev_b32_sdwa v93, v6, v93 dst_sel:DWORD dst_unused:UNUSED_PAD src0_sel:DWORD src1_sel:WORD_0
	v_add3_u32 v87, 0, v87, v90
	v_add3_u32 v88, 0, v88, v92
	v_mul_u32_u24_sdwa v90, v97, v102 dst_sel:DWORD dst_unused:UNUSED_PAD src0_sel:WORD_0 src1_sel:DWORD
	v_lshlrev_b32_sdwa v92, v6, v99 dst_sel:DWORD dst_unused:UNUSED_PAD src0_sel:DWORD src1_sel:BYTE_0
	v_add3_u32 v91, 0, v91, v94
	v_mul_u32_u24_sdwa v94, v98, v102 dst_sel:DWORD dst_unused:UNUSED_PAD src0_sel:WORD_0 src1_sel:DWORD
	v_lshlrev_b32_sdwa v97, v6, v100 dst_sel:DWORD dst_unused:UNUSED_PAD src0_sel:DWORD src1_sel:BYTE_0
	v_add3_u32 v89, 0, v89, v93
	v_add3_u32 v90, 0, v90, v92
	s_waitcnt vmcnt(0) lgkmcnt(0)
	s_barrier
	v_add3_u32 v92, 0, v94, v97
	buffer_gl0_inv
	v_lshlrev_b32_sdwa v93, v7, v109 dst_sel:DWORD dst_unused:UNUSED_PAD src0_sel:DWORD src1_sel:BYTE_0
	v_mul_f32_e32 v94, v64, v9
	v_mul_f32_e32 v9, v63, v9
	;; [unrolled: 1-line block ×8, first 2 shown]
	v_fmac_f32_e32 v94, v63, v8
	v_fma_f32 v8, v64, v8, -v9
	v_fmac_f32_e32 v97, v67, v10
	v_fma_f32 v9, v68, v10, -v11
	v_fma_f32 v10, v66, v12, -v13
	;; [unrolled: 1-line block ×3, first 2 shown]
	v_mul_f32_e32 v102, v80, v19
	v_mul_f32_e32 v19, v79, v19
	;; [unrolled: 1-line block ×4, first 2 shown]
	v_fmac_f32_e32 v98, v65, v12
	v_fmac_f32_e32 v99, v69, v14
	v_add_f32_e32 v65, v10, v13
	v_mul_f32_e32 v111, v78, v21
	v_mul_f32_e32 v21, v77, v21
	v_fma_f32 v15, v80, v18, -v19
	v_fma_f32 v19, v82, v22, -v23
	v_add_f32_e32 v23, v98, v99
	v_add_f32_e32 v64, v43, v10
	v_sub_f32_e32 v66, v98, v99
	v_fmac_f32_e32 v43, -0.5, v65
	v_fmac_f32_e32 v111, v77, v20
	v_fma_f32 v12, v78, v20, -v21
	v_add_f32_e32 v20, v42, v98
	v_fma_f32 v42, -0.5, v23, v42
	v_fmamk_f32 v23, v66, 0x3f5db3d7, v43
	v_fmac_f32_e32 v43, 0xbf5db3d7, v66
	v_mul_f32_e32 v100, v76, v17
	v_mul_f32_e32 v17, v75, v17
	v_fmac_f32_e32 v102, v79, v18
	v_fmac_f32_e32 v112, v81, v22
	v_add_f32_e32 v18, v8, v9
	v_fmac_f32_e32 v100, v75, v16
	v_fma_f32 v11, v76, v16, -v17
	v_add_f32_e32 v16, v94, v97
	v_add_f32_e32 v17, v41, v8
	;; [unrolled: 1-line block ×7, first 2 shown]
	v_sub_f32_e32 v21, v8, v9
	v_sub_f32_e32 v22, v94, v97
	;; [unrolled: 1-line block ×4, first 2 shown]
	v_add_f32_e32 v70, v72, v11
	v_fma_f32 v10, -0.5, v16, v40
	v_fma_f32 v11, -0.5, v18, v41
	;; [unrolled: 1-line block ×3, first 2 shown]
	v_add_f32_e32 v67, v71, v100
	v_sub_f32_e32 v76, v100, v102
	v_add_f32_e32 v77, v73, v111
	v_mul_f32_e32 v65, v25, v37
	v_mul_f32_e32 v25, v25, v36
	;; [unrolled: 1-line block ×4, first 2 shown]
	v_sub_f32_e32 v79, v12, v19
	v_fmac_f32_e32 v65, v24, v36
	v_fma_f32 v24, v24, v37, -v25
	v_fmac_f32_e32 v66, v26, v83
	v_fma_f32 v27, v26, v84, -v27
	v_mul_f32_e32 v36, v29, v39
	v_mul_f32_e32 v25, v29, v38
	;; [unrolled: 1-line block ×4, first 2 shown]
	v_add_f32_e32 v26, v65, v66
	v_fmac_f32_e32 v36, v28, v38
	v_fma_f32 v28, v28, v39, -v25
	v_fmac_f32_e32 v37, v85, v30
	v_fma_f32 v31, v86, v30, -v29
	v_add_f32_e32 v25, v32, v65
	v_add_f32_e32 v30, v33, v24
	;; [unrolled: 1-line block ×3, first 2 shown]
	v_sub_f32_e32 v39, v65, v66
	v_fma_f32 v26, -0.5, v26, v32
	v_add_f32_e32 v32, v36, v37
	v_add_f32_e32 v65, v28, v31
	v_sub_f32_e32 v29, v24, v27
	v_add_f32_e32 v24, v25, v66
	v_add_f32_e32 v25, v30, v27
	v_fma_f32 v27, -0.5, v38, v33
	v_add_f32_e32 v30, v34, v36
	v_sub_f32_e32 v33, v28, v31
	v_add_f32_e32 v38, v35, v28
	v_sub_f32_e32 v36, v36, v37
	v_fma_f32 v34, -0.5, v32, v34
	v_fmac_f32_e32 v35, -0.5, v65
	v_add_f32_e32 v80, v74, v12
	v_sub_f32_e32 v82, v111, v112
	v_add_f32_e32 v9, v17, v9
	v_fma_f32 v17, -0.5, v75, v72
	v_fma_f32 v73, -0.5, v78, v73
	v_fmac_f32_e32 v74, -0.5, v81
	v_fmamk_f32 v28, v29, 0xbf5db3d7, v26
	v_fmac_f32_e32 v26, 0x3f5db3d7, v29
	v_fmamk_f32 v29, v39, 0x3f5db3d7, v27
	v_fmac_f32_e32 v27, 0xbf5db3d7, v39
	v_add_f32_e32 v30, v30, v37
	v_add_f32_e32 v31, v38, v31
	v_fmamk_f32 v32, v33, 0xbf5db3d7, v34
	v_fmac_f32_e32 v34, 0x3f5db3d7, v33
	v_fmamk_f32 v33, v36, 0x3f5db3d7, v35
	v_fmac_f32_e32 v35, 0xbf5db3d7, v36
	v_add_f32_e32 v8, v14, v97
	v_add_f32_e32 v12, v20, v99
	v_fmamk_f32 v20, v21, 0xbf5db3d7, v10
	v_fmac_f32_e32 v10, 0x3f5db3d7, v21
	v_fmamk_f32 v21, v22, 0x3f5db3d7, v11
	v_fmamk_f32 v40, v69, 0xbf5db3d7, v16
	v_fmac_f32_e32 v16, 0x3f5db3d7, v69
	v_add_f32_e32 v13, v64, v13
	v_add_f32_e32 v14, v67, v102
	;; [unrolled: 1-line block ×5, first 2 shown]
	v_fmac_f32_e32 v11, 0xbf5db3d7, v22
	v_fmamk_f32 v22, v63, 0xbf5db3d7, v42
	v_fmac_f32_e32 v42, 0x3f5db3d7, v63
	v_fmamk_f32 v41, v76, 0x3f5db3d7, v17
	;; [unrolled: 2-line block ×4, first 2 shown]
	v_fmac_f32_e32 v74, 0xbf5db3d7, v82
	ds_write2_b64 v90, v[24:25], v[28:29] offset1:11
	ds_write_b64 v90, v[26:27] offset:176
	ds_write2_b64 v92, v[30:31], v[32:33] offset1:11
	ds_write_b64 v92, v[34:35] offset:176
	;; [unrolled: 2-line block ×6, first 2 shown]
	v_mul_lo_u16 v16, v105, 33
	v_mul_lo_u16 v20, v101, 33
	v_sub_nc_u16 v32, v5, v108
	v_lshlrev_b32_sdwa v17, v7, v107 dst_sel:DWORD dst_unused:UNUSED_PAD src0_sel:DWORD src1_sel:WORD_0
	s_waitcnt lgkmcnt(0)
	v_sub_nc_u16 v33, v3, v16
	v_sub_nc_u16 v34, v4, v20
	s_barrier
	buffer_gl0_inv
	s_clause 0x1
	global_load_dwordx4 v[8:11], v110, s[12:13] offset:176
	global_load_dwordx4 v[12:15], v93, s[12:13] offset:176
	v_lshlrev_b32_sdwa v21, v7, v32 dst_sel:DWORD dst_unused:UNUSED_PAD src0_sel:DWORD src1_sel:WORD_0
	v_lshlrev_b32_sdwa v24, v7, v33 dst_sel:DWORD dst_unused:UNUSED_PAD src0_sel:DWORD src1_sel:WORD_0
	;; [unrolled: 1-line block ×3, first 2 shown]
	global_load_dwordx4 v[16:19], v17, s[12:13] offset:176
	v_mov_b32_e32 v38, 0x318
	s_clause 0x2
	global_load_dwordx4 v[20:23], v21, s[12:13] offset:176
	global_load_dwordx4 v[24:27], v24, s[12:13] offset:176
	;; [unrolled: 1-line block ×3, first 2 shown]
	v_mov_b32_e32 v7, 0xa57f
	v_mul_u32_u24_e32 v40, 0x318, v103
	v_mul_u32_u24_sdwa v39, v95, v38 dst_sel:DWORD dst_unused:UNUSED_PAD src0_sel:WORD_0 src1_sel:DWORD
	v_mul_u32_u24_e32 v41, 0x318, v104
	v_mul_u32_u24_e32 v42, 0x318, v105
	v_mul_u32_u24_sdwa v35, v1, v7 dst_sel:DWORD dst_unused:UNUSED_PAD src0_sel:WORD_0 src1_sel:DWORD
	v_mul_u32_u24_sdwa v36, v5, v7 dst_sel:DWORD dst_unused:UNUSED_PAD src0_sel:WORD_0 src1_sel:DWORD
	;; [unrolled: 1-line block ×4, first 2 shown]
	v_lshlrev_b32_sdwa v32, v6, v32 dst_sel:DWORD dst_unused:UNUSED_PAD src0_sel:DWORD src1_sel:WORD_0
	v_lshrrev_b32_e32 v35, 22, v35
	v_lshrrev_b32_e32 v36, 22, v36
	;; [unrolled: 1-line block ×4, first 2 shown]
	v_mul_u32_u24_e32 v43, 0x318, v101
	v_mul_lo_u16 v35, 0x63, v35
	v_mul_lo_u16 v36, 0x63, v36
	;; [unrolled: 1-line block ×3, first 2 shown]
	v_lshlrev_b32_sdwa v37, v6, v33 dst_sel:DWORD dst_unused:UNUSED_PAD src0_sel:DWORD src1_sel:WORD_0
	v_mul_lo_u16 v90, 0x63, v7
	v_sub_nc_u16 v35, v1, v35
	v_sub_nc_u16 v91, v5, v36
	v_lshlrev_b32_sdwa v5, v6, v106 dst_sel:DWORD dst_unused:UNUSED_PAD src0_sel:DWORD src1_sel:BYTE_0
	v_lshlrev_b32_sdwa v36, v6, v107 dst_sel:DWORD dst_unused:UNUSED_PAD src0_sel:DWORD src1_sel:WORD_0
	v_mul_u32_u24_sdwa v7, v96, v38 dst_sel:DWORD dst_unused:UNUSED_PAD src0_sel:WORD_0 src1_sel:DWORD
	v_lshlrev_b32_sdwa v63, v6, v34 dst_sel:DWORD dst_unused:UNUSED_PAD src0_sel:DWORD src1_sel:WORD_0
	v_lshlrev_b32_sdwa v64, v6, v109 dst_sel:DWORD dst_unused:UNUSED_PAD src0_sel:DWORD src1_sel:BYTE_0
	v_and_b32_e32 v92, 0xffff, v35
	v_add3_u32 v93, 0, v39, v5
	v_add3_u32 v94, 0, v40, v36
	;; [unrolled: 1-line block ×3, first 2 shown]
	ds_read2_b64 v[32:35], v60 offset0:82 offset1:181
	v_add3_u32 v96, 0, v42, v37
	ds_read2_b64 v[36:39], v0 offset0:36 offset1:135
	v_lshlrev_b64 v[5:6], 3, v[53:54]
	v_add3_u32 v53, 0, v43, v63
	v_add3_u32 v97, 0, v7, v64
	ds_read2_b64 v[40:43], v61 offset0:24 offset1:123
	ds_read2_b64 v[63:66], v59 offset0:106 offset1:205
	ds_read2_b64 v[67:70], v55 offset1:99
	ds_read2_b64 v[71:74], v56 offset0:70 offset1:169
	ds_read2_b64 v[75:78], v57 offset0:140 offset1:239
	;; [unrolled: 1-line block ×4, first 2 shown]
	v_sub_nc_u16 v3, v3, v89
	v_add_co_u32 v87, s0, s12, v5
	v_add_co_ci_u32_e64 v88, s0, s13, v6, s0
	v_sub_nc_u16 v4, v4, v90
	s_waitcnt vmcnt(0) lgkmcnt(0)
	s_barrier
	buffer_gl0_inv
	v_and_b32_e32 v3, 0xffff, v3
	v_and_b32_e32 v4, 0xffff, v4
	v_mul_f32_e32 v5, v9, v33
	v_mul_f32_e32 v6, v9, v32
	;; [unrolled: 1-line block ×24, first 2 shown]
	v_fmac_f32_e32 v5, v8, v32
	v_fma_f32 v6, v8, v33, -v6
	v_fmac_f32_e32 v7, v10, v36
	v_fma_f32 v8, v10, v37, -v9
	;; [unrolled: 2-line block ×12, first 2 shown]
	v_add_f32_e32 v19, v67, v5
	v_add_f32_e32 v20, v5, v7
	;; [unrolled: 1-line block ×9, first 2 shown]
	v_sub_f32_e32 v24, v6, v8
	v_sub_f32_e32 v25, v5, v7
	v_add_f32_e32 v38, v101, v102
	v_add_f32_e32 v41, v13, v16
	v_add_f32_e32 v63, v103, v104
	v_add_f32_e32 v66, v15, v18
	v_add_f32_e32 v81, v105, v106
	v_add_f32_e32 v84, v17, v22
	v_add_f32_e32 v5, v19, v7
	v_fma_f32 v7, -0.5, v20, v67
	v_add_f32_e32 v6, v21, v8
	v_fma_f32 v8, -0.5, v23, v68
	v_add_f32_e32 v26, v69, v11
	v_sub_f32_e32 v28, v9, v10
	v_add_f32_e32 v29, v70, v9
	v_sub_f32_e32 v31, v11, v98
	v_fma_f32 v69, -0.5, v27, v69
	v_fmac_f32_e32 v70, -0.5, v30
	v_add_f32_e32 v11, v71, v99
	v_sub_f32_e32 v33, v12, v14
	v_sub_f32_e32 v36, v99, v100
	;; [unrolled: 1-line block ×3, first 2 shown]
	v_add_f32_e32 v40, v74, v13
	v_fma_f32 v13, -0.5, v32, v71
	v_add_f32_e32 v12, v34, v14
	v_fma_f32 v14, -0.5, v35, v72
	v_add_f32_e32 v37, v73, v101
	v_sub_f32_e32 v42, v101, v102
	v_add_f32_e32 v43, v75, v103
	v_sub_f32_e32 v64, v15, v18
	;; [unrolled: 2-line block ×5, first 2 shown]
	v_fma_f32 v73, -0.5, v38, v73
	v_fmac_f32_e32 v74, -0.5, v41
	v_fma_f32 v19, -0.5, v63, v75
	v_fma_f32 v20, -0.5, v66, v76
	;; [unrolled: 1-line block ×3, first 2 shown]
	v_fmac_f32_e32 v78, -0.5, v84
	v_fmamk_f32 v23, v24, 0xbf5db3d7, v7
	v_fmac_f32_e32 v7, 0x3f5db3d7, v24
	v_fmamk_f32 v24, v25, 0x3f5db3d7, v8
	v_fmac_f32_e32 v8, 0xbf5db3d7, v25
	v_add_f32_e32 v9, v26, v98
	v_add_f32_e32 v10, v29, v10
	v_fmamk_f32 v25, v28, 0xbf5db3d7, v69
	v_fmamk_f32 v26, v31, 0x3f5db3d7, v70
	v_fmac_f32_e32 v69, 0x3f5db3d7, v28
	v_fmac_f32_e32 v70, 0xbf5db3d7, v31
	v_add_f32_e32 v11, v11, v100
	v_fmamk_f32 v27, v33, 0xbf5db3d7, v13
	v_fmamk_f32 v28, v36, 0x3f5db3d7, v14
	v_add_f32_e32 v15, v37, v102
	v_add_f32_e32 v16, v40, v16
	;; [unrolled: 1-line block ×6, first 2 shown]
	v_fmac_f32_e32 v13, 0x3f5db3d7, v33
	v_fmac_f32_e32 v14, 0xbf5db3d7, v36
	v_fmamk_f32 v29, v39, 0xbf5db3d7, v73
	v_fmac_f32_e32 v73, 0x3f5db3d7, v39
	v_fmamk_f32 v30, v42, 0x3f5db3d7, v74
	;; [unrolled: 2-line block ×6, first 2 shown]
	v_fmac_f32_e32 v78, 0xbf5db3d7, v85
	ds_write2_b64 v93, v[5:6], v[23:24] offset1:33
	ds_write_b64 v93, v[7:8] offset:528
	ds_write2_b64 v97, v[9:10], v[25:26] offset1:33
	ds_write_b64 v97, v[69:70] offset:528
	;; [unrolled: 2-line block ×6, first 2 shown]
	v_and_b32_e32 v25, 0xffff, v91
	v_lshlrev_b32_e32 v9, 4, v92
	s_waitcnt lgkmcnt(0)
	s_barrier
	buffer_gl0_inv
	global_load_dwordx4 v[5:8], v[87:88], off offset:704
	v_lshlrev_b32_e32 v13, 4, v25
	v_lshlrev_b32_e32 v17, 4, v3
	;; [unrolled: 1-line block ×3, first 2 shown]
	global_load_dwordx4 v[9:12], v9, s[12:13] offset:704
	v_lshlrev_b32_e32 v53, 1, v2
	s_clause 0x2
	global_load_dwordx4 v[13:16], v13, s[12:13] offset:704
	global_load_dwordx4 v[17:20], v17, s[12:13] offset:704
	;; [unrolled: 1-line block ×3, first 2 shown]
	v_lshl_add_u32 v80, v3, 3, 0
	v_add_co_u32 v41, s0, 0x800, v87
	v_lshlrev_b64 v[2:3], 3, v[53:54]
	v_lshlrev_b32_e32 v53, 1, v1
	v_add_co_ci_u32_e64 v42, s0, 0, v88, s0
	v_lshl_add_u32 v79, v25, 3, 0
	v_lshl_add_u32 v81, v4, 3, 0
	v_add_co_u32 v29, s0, s12, v2
	v_lshlrev_b64 v[37:38], 3, v[53:54]
	v_add_co_ci_u32_e64 v30, s0, s13, v3, s0
	ds_read2_b64 v[1:4], v60 offset0:82 offset1:181
	ds_read2_b64 v[25:28], v0 offset0:36 offset1:135
	v_add_co_u32 v53, s0, 0x800, v29
	v_add_co_ci_u32_e64 v54, s0, 0, v30, s0
	ds_read2_b64 v[29:32], v61 offset0:24 offset1:123
	ds_read2_b64 v[33:36], v59 offset0:106 offset1:205
	v_add_co_u32 v86, s0, s12, v37
	v_add_co_ci_u32_e64 v87, s0, s13, v38, s0
	ds_read2_b64 v[37:40], v55 offset1:99
	ds_read2_b64 v[63:66], v56 offset0:70 offset1:169
	ds_read2_b64 v[67:70], v57 offset0:140 offset1:239
	;; [unrolled: 1-line block ×4, first 2 shown]
	v_lshl_add_u32 v43, v92, 3, 0
	v_add_nc_u32_e32 v83, 0x1800, v79
	v_add_nc_u32_e32 v84, 0x2400, v80
	;; [unrolled: 1-line block ×3, first 2 shown]
	s_waitcnt vmcnt(0) lgkmcnt(0)
	v_add_nc_u32_e32 v82, 0x1000, v43
	s_barrier
	buffer_gl0_inv
	v_mul_f32_e32 v88, v6, v2
	v_mul_f32_e32 v89, v6, v1
	;; [unrolled: 1-line block ×24, first 2 shown]
	v_fmac_f32_e32 v88, v5, v1
	v_fma_f32 v1, v5, v2, -v89
	v_fmac_f32_e32 v90, v7, v25
	v_fma_f32 v2, v7, v26, -v91
	;; [unrolled: 2-line block ×12, first 2 shown]
	v_add_f32_e32 v11, v88, v90
	v_add_f32_e32 v15, v1, v2
	;; [unrolled: 1-line block ×7, first 2 shown]
	v_sub_f32_e32 v20, v1, v2
	v_add_f32_e32 v13, v38, v1
	v_sub_f32_e32 v21, v88, v90
	v_add_f32_e32 v16, v39, v92
	;; [unrolled: 2-line block ×4, first 2 shown]
	v_add_f32_e32 v32, v96, v97
	v_add_f32_e32 v35, v5, v12
	;; [unrolled: 1-line block ×6, first 2 shown]
	v_fma_f32 v3, -0.5, v11, v37
	v_fma_f32 v4, -0.5, v15, v38
	v_sub_f32_e32 v24, v92, v93
	v_fma_f32 v39, -0.5, v17, v39
	v_fmac_f32_e32 v40, -0.5, v23
	v_add_f32_e32 v25, v63, v94
	v_sub_f32_e32 v30, v94, v95
	v_sub_f32_e32 v88, v9, v18
	v_add_f32_e32 v89, v70, v9
	v_add_f32_e32 v1, v10, v90
	v_fma_f32 v9, -0.5, v26, v63
	v_fma_f32 v10, -0.5, v29, v64
	v_add_f32_e32 v31, v65, v96
	v_sub_f32_e32 v33, v5, v12
	v_add_f32_e32 v34, v66, v5
	v_sub_f32_e32 v36, v96, v97
	;; [unrolled: 2-line block ×5, first 2 shown]
	v_add_f32_e32 v2, v13, v2
	v_add_f32_e32 v5, v16, v93
	;; [unrolled: 1-line block ×3, first 2 shown]
	v_fma_f32 v65, -0.5, v32, v65
	v_fmac_f32_e32 v66, -0.5, v35
	v_fma_f32 v15, -0.5, v72, v67
	v_fma_f32 v16, -0.5, v75, v68
	;; [unrolled: 1-line block ×3, first 2 shown]
	v_fmac_f32_e32 v70, -0.5, v91
	v_fmamk_f32 v19, v20, 0xbf5db3d7, v3
	v_fmac_f32_e32 v3, 0x3f5db3d7, v20
	v_fmamk_f32 v20, v21, 0x3f5db3d7, v4
	v_fmac_f32_e32 v4, 0xbf5db3d7, v21
	;; [unrolled: 2-line block ×4, first 2 shown]
	v_add_f32_e32 v7, v25, v95
	v_add_f32_e32 v8, v28, v8
	v_fmamk_f32 v23, v27, 0xbf5db3d7, v9
	v_fmamk_f32 v24, v30, 0x3f5db3d7, v10
	v_fmac_f32_e32 v9, 0x3f5db3d7, v27
	v_fmac_f32_e32 v10, 0xbf5db3d7, v30
	v_add_f32_e32 v11, v31, v97
	v_add_f32_e32 v12, v34, v12
	;; [unrolled: 1-line block ×6, first 2 shown]
	v_fmamk_f32 v25, v33, 0xbf5db3d7, v65
	v_fmac_f32_e32 v65, 0x3f5db3d7, v33
	v_fmamk_f32 v26, v36, 0x3f5db3d7, v66
	v_fmac_f32_e32 v66, 0xbf5db3d7, v36
	;; [unrolled: 2-line block ×6, first 2 shown]
	ds_write2_b64 v55, v[1:2], v[19:20] offset1:99
	ds_write2_b64 v56, v[3:4], v[5:6] offset0:70 offset1:169
	ds_write2_b64 v57, v[21:22], v[39:40] offset0:140 offset1:239
	;; [unrolled: 1-line block ×3, first 2 shown]
	ds_write_b64 v43, v[9:10] offset:6336
	ds_write2_b64 v83, v[11:12], v[25:26] offset0:123 offset1:222
	ds_write_b64 v79, v[65:66] offset:8712
	ds_write2_b64 v84, v[13:14], v[27:28] offset0:36 offset1:135
	;; [unrolled: 2-line block ×3, first 2 shown]
	ds_write_b64 v81, v[69:70] offset:13464
	v_add_co_u32 v9, s0, 0x800, v86
	v_add_co_ci_u32_e64 v10, s0, 0, v87, s0
	s_waitcnt lgkmcnt(0)
	s_barrier
	buffer_gl0_inv
	s_clause 0x2
	global_load_dwordx4 v[1:4], v[41:42], off offset:240
	global_load_dwordx4 v[5:8], v[53:54], off offset:240
	;; [unrolled: 1-line block ×3, first 2 shown]
	v_add_co_u32 v13, s0, s12, v49
	v_add_co_ci_u32_e64 v14, s0, s13, v50, s0
	v_add_co_u32 v43, s0, s12, v51
	v_add_co_ci_u32_e64 v69, s0, s13, v52, s0
	;; [unrolled: 2-line block ×3, first 2 shown]
	ds_read2_b64 v[13:16], v60 offset0:82 offset1:181
	ds_read2_b64 v[17:20], v0 offset0:36 offset1:135
	;; [unrolled: 1-line block ×4, first 2 shown]
	ds_read2_b64 v[29:32], v55 offset1:99
	ds_read2_b64 v[33:36], v56 offset0:70 offset1:169
	ds_read2_b64 v[37:40], v57 offset0:140 offset1:239
	;; [unrolled: 1-line block ×4, first 2 shown]
	v_add_co_u32 v53, s0, 0x1800, v43
	v_add_co_ci_u32_e64 v54, s0, 0, v69, s0
	v_add_co_u32 v67, s0, 0x2000, v43
	v_add_co_ci_u32_e64 v68, s0, 0, v69, s0
	s_waitcnt vmcnt(0) lgkmcnt(0)
	s_barrier
	buffer_gl0_inv
	v_mul_f32_e32 v70, v2, v14
	v_mul_f32_e32 v71, v2, v13
	;; [unrolled: 1-line block ×24, first 2 shown]
	v_fmac_f32_e32 v70, v1, v13
	v_fma_f32 v13, v1, v14, -v71
	v_fmac_f32_e32 v72, v3, v17
	v_fma_f32 v14, v3, v18, -v73
	;; [unrolled: 2-line block ×12, first 2 shown]
	v_add_f32_e32 v4, v29, v70
	v_add_f32_e32 v5, v70, v72
	v_add_f32_e32 v7, v13, v14
	v_add_f32_e32 v9, v74, v76
	v_add_f32_e32 v11, v15, v16
	v_sub_f32_e32 v22, v13, v14
	v_add_f32_e32 v6, v30, v13
	v_sub_f32_e32 v24, v15, v16
	v_add_f32_e32 v10, v32, v15
	v_add_f32_e32 v13, v78, v80
	v_sub_f32_e32 v26, v17, v18
	v_add_f32_e32 v15, v34, v17
	v_add_f32_e32 v17, v17, v18
	v_add_f32_e32 v8, v31, v74
	v_add_f32_e32 v49, v82, v83
	v_add_f32_e32 v52, v1, v19
	v_add_f32_e32 v65, v84, v85
	v_add_f32_e32 v71, v2, v20
	v_add_f32_e32 v75, v86, v87
	v_add_f32_e32 v79, v3, v21
	v_sub_f32_e32 v23, v70, v72
	v_sub_f32_e32 v25, v74, v76
	v_add_f32_e32 v12, v33, v78
	v_sub_f32_e32 v27, v78, v80
	v_add_f32_e32 v64, v37, v84
	v_add_f32_e32 v70, v38, v2
	v_add_f32_e32 v74, v39, v86
	v_add_f32_e32 v78, v40, v3
	v_sub_f32_e32 v50, v1, v19
	v_add_f32_e32 v51, v36, v1
	v_sub_f32_e32 v77, v3, v21
	v_add_f32_e32 v1, v4, v72
	v_fma_f32 v3, -0.5, v5, v29
	v_fma_f32 v4, -0.5, v7, v30
	;; [unrolled: 1-line block ×3, first 2 shown]
	v_fmac_f32_e32 v32, -0.5, v11
	v_sub_f32_e32 v66, v2, v20
	v_add_f32_e32 v2, v6, v14
	v_add_f32_e32 v6, v10, v16
	v_fma_f32 v9, -0.5, v13, v33
	v_fma_f32 v10, -0.5, v17, v34
	v_add_f32_e32 v28, v35, v82
	v_sub_f32_e32 v63, v82, v83
	v_sub_f32_e32 v73, v84, v85
	;; [unrolled: 1-line block ×3, first 2 shown]
	v_add_f32_e32 v5, v8, v76
	v_add_f32_e32 v8, v15, v18
	v_fma_f32 v35, -0.5, v49, v35
	v_fmac_f32_e32 v36, -0.5, v52
	v_fma_f32 v15, -0.5, v65, v37
	v_fma_f32 v16, -0.5, v71, v38
	;; [unrolled: 1-line block ×3, first 2 shown]
	v_fmac_f32_e32 v40, -0.5, v79
	v_add_f32_e32 v13, v64, v85
	v_add_f32_e32 v14, v70, v20
	;; [unrolled: 1-line block ×6, first 2 shown]
	v_fmamk_f32 v19, v22, 0xbf5db3d7, v3
	v_fmac_f32_e32 v3, 0x3f5db3d7, v22
	v_fmamk_f32 v20, v23, 0x3f5db3d7, v4
	v_fmac_f32_e32 v4, 0xbf5db3d7, v23
	;; [unrolled: 2-line block ×4, first 2 shown]
	v_fmamk_f32 v23, v26, 0xbf5db3d7, v9
	v_fmamk_f32 v24, v27, 0x3f5db3d7, v10
	v_add_f32_e32 v11, v28, v83
	v_fmac_f32_e32 v9, 0x3f5db3d7, v26
	v_fmac_f32_e32 v10, 0xbf5db3d7, v27
	v_fmamk_f32 v25, v50, 0xbf5db3d7, v35
	v_fmac_f32_e32 v35, 0x3f5db3d7, v50
	v_fmamk_f32 v26, v63, 0x3f5db3d7, v36
	;; [unrolled: 2-line block ×6, first 2 shown]
	v_fmac_f32_e32 v40, 0xbf5db3d7, v81
	ds_write2_b64 v55, v[1:2], v[5:6] offset1:99
	ds_write2_b64 v62, v[13:14], v[17:18] offset0:94 offset1:193
	ds_write2_b64 v60, v[3:4], v[31:32] offset0:82 offset1:181
	;; [unrolled: 1-line block ×8, first 2 shown]
	v_add_co_u32 v1, s0, 0x2800, v43
	v_add_co_ci_u32_e64 v2, s0, 0, v69, s0
	v_add_co_u32 v3, s0, 0x3000, v43
	v_add_co_ci_u32_e64 v4, s0, 0, v69, s0
	s_waitcnt lgkmcnt(0)
	s_barrier
	buffer_gl0_inv
	s_clause 0x8
	global_load_dwordx2 v[37:38], v[41:42], off offset:896
	global_load_dwordx2 v[39:40], v[53:54], off offset:1688
	;; [unrolled: 1-line block ×9, first 2 shown]
	ds_read2_b64 v[1:4], v61 offset0:24 offset1:123
	ds_read2_b64 v[5:8], v62 offset0:94 offset1:193
	;; [unrolled: 1-line block ×4, first 2 shown]
	ds_read2_b64 v[17:20], v55 offset1:99
	ds_read2_b64 v[21:24], v56 offset0:70 offset1:169
	ds_read2_b64 v[25:28], v58 offset0:48 offset1:147
	;; [unrolled: 1-line block ×4, first 2 shown]
	s_waitcnt vmcnt(0) lgkmcnt(0)
	s_barrier
	buffer_gl0_inv
	v_mul_f32_e32 v69, v40, v6
	v_mul_f32_e32 v40, v40, v5
	;; [unrolled: 1-line block ×18, first 2 shown]
	v_fmac_f32_e32 v43, v37, v3
	v_fma_f32 v4, v37, v4, -v38
	v_fmac_f32_e32 v69, v39, v5
	v_fma_f32 v6, v39, v6, -v40
	;; [unrolled: 2-line block ×9, first 2 shown]
	v_sub_f32_e32 v3, v17, v43
	v_sub_f32_e32 v4, v18, v4
	;; [unrolled: 1-line block ×18, first 2 shown]
	v_fma_f32 v17, v17, 2.0, -v3
	v_fma_f32 v18, v18, 2.0, -v4
	;; [unrolled: 1-line block ×18, first 2 shown]
	ds_write2_b64 v62, v[5:6], v[7:8] offset0:94 offset1:193
	ds_write2_b64 v0, v[9:10], v[11:12] offset0:36 offset1:135
	;; [unrolled: 1-line block ×4, first 2 shown]
	ds_write2_b64 v55, v[17:18], v[19:20] offset1:99
	ds_write2_b64 v56, v[21:22], v[23:24] offset0:70 offset1:169
	ds_write2_b64 v57, v[29:30], v[31:32] offset0:140 offset1:239
	;; [unrolled: 1-line block ×4, first 2 shown]
	s_waitcnt lgkmcnt(0)
	s_barrier
	buffer_gl0_inv
	s_and_saveexec_b32 s0, vcc_lo
	s_cbranch_execz .LBB0_23
; %bb.22:
	v_mul_lo_u32 v2, s3, v46
	v_mul_lo_u32 v3, s2, v47
	v_mad_u64_u32 v[0:1], null, s2, v46, 0
	v_lshl_add_u32 v20, v48, 3, 0
	v_mov_b32_e32 v49, 0
	v_lshlrev_b64 v[4:5], 3, v[44:45]
	v_add_nc_u32_e32 v8, 0x63, v48
	v_add_nc_u32_e32 v10, 0xc6, v48
	;; [unrolled: 1-line block ×3, first 2 shown]
	v_add3_u32 v1, v1, v3, v2
	v_mov_b32_e32 v13, v49
	v_add_nc_u32_e32 v16, 0x18c, v48
	v_mov_b32_e32 v17, v49
	v_add_nc_u32_e32 v18, 0x1ef, v48
	v_lshlrev_b64 v[6:7], 3, v[0:1]
	ds_read2_b64 v[0:3], v20 offset1:99
	v_lshlrev_b64 v[12:13], 3, v[12:13]
	v_lshlrev_b64 v[16:17], 3, v[16:17]
	v_mov_b32_e32 v19, v49
	v_add_co_u32 v9, vcc_lo, s10, v6
	v_add_co_ci_u32_e32 v11, vcc_lo, s11, v7, vcc_lo
	v_lshlrev_b64 v[6:7], 3, v[48:49]
	v_add_co_u32 v21, vcc_lo, v9, v4
	v_add_co_ci_u32_e32 v22, vcc_lo, v11, v5, vcc_lo
	v_mov_b32_e32 v9, v49
	v_add_co_u32 v4, vcc_lo, v21, v6
	v_add_co_ci_u32_e32 v5, vcc_lo, v22, v7, vcc_lo
	v_lshlrev_b64 v[6:7], 3, v[8:9]
	v_add_nc_u32_e32 v8, 0x400, v20
	v_mov_b32_e32 v11, v49
	v_add_nc_u32_e32 v9, 0x800, v20
	s_waitcnt lgkmcnt(0)
	global_store_dwordx2 v[4:5], v[0:1], off
	v_add_co_u32 v0, vcc_lo, v21, v6
	v_add_co_ci_u32_e32 v1, vcc_lo, v22, v7, vcc_lo
	ds_read2_b64 v[4:7], v8 offset0:70 offset1:169
	v_lshlrev_b64 v[14:15], 3, v[10:11]
	ds_read2_b64 v[8:11], v9 offset0:140 offset1:239
	v_add_co_u32 v14, vcc_lo, v21, v14
	v_add_co_ci_u32_e32 v15, vcc_lo, v22, v15, vcc_lo
	v_add_co_u32 v12, vcc_lo, v21, v12
	v_add_co_ci_u32_e32 v13, vcc_lo, v22, v13, vcc_lo
	;; [unrolled: 2-line block ×3, first 2 shown]
	global_store_dwordx2 v[0:1], v[2:3], off
	s_waitcnt lgkmcnt(1)
	global_store_dwordx2 v[14:15], v[4:5], off
	global_store_dwordx2 v[12:13], v[6:7], off
	s_waitcnt lgkmcnt(0)
	global_store_dwordx2 v[16:17], v[8:9], off
	v_lshlrev_b64 v[0:1], 3, v[18:19]
	v_add_nc_u32_e32 v2, 0x1000, v20
	v_add_nc_u32_e32 v4, 0x252, v48
	v_mov_b32_e32 v5, v49
	v_add_nc_u32_e32 v6, 0x2b5, v48
	v_mov_b32_e32 v7, v49
	v_add_nc_u32_e32 v17, 0x1800, v20
	v_add_co_u32 v8, vcc_lo, v21, v0
	v_add_co_ci_u32_e32 v9, vcc_lo, v22, v1, vcc_lo
	ds_read2_b64 v[0:3], v2 offset0:82 offset1:181
	v_lshlrev_b64 v[12:13], 3, v[4:5]
	v_lshlrev_b64 v[14:15], 3, v[6:7]
	ds_read2_b64 v[4:7], v17 offset0:24 offset1:123
	v_add_nc_u32_e32 v16, 0x318, v48
	v_mov_b32_e32 v17, v49
	v_add_nc_u32_e32 v18, 0x37b, v48
	v_add_co_u32 v12, vcc_lo, v21, v12
	v_add_co_ci_u32_e32 v13, vcc_lo, v22, v13, vcc_lo
	v_lshlrev_b64 v[16:17], 3, v[16:17]
	v_add_co_u32 v14, vcc_lo, v21, v14
	v_add_co_ci_u32_e32 v15, vcc_lo, v22, v15, vcc_lo
	v_add_co_u32 v16, vcc_lo, v21, v16
	v_add_co_ci_u32_e32 v17, vcc_lo, v22, v17, vcc_lo
	global_store_dwordx2 v[8:9], v[10:11], off
	s_waitcnt lgkmcnt(1)
	global_store_dwordx2 v[12:13], v[0:1], off
	global_store_dwordx2 v[14:15], v[2:3], off
	s_waitcnt lgkmcnt(0)
	global_store_dwordx2 v[16:17], v[4:5], off
	v_lshlrev_b64 v[0:1], 3, v[18:19]
	v_add_nc_u32_e32 v2, 0x1c00, v20
	v_add_nc_u32_e32 v8, 0x441, v48
	v_mov_b32_e32 v9, v49
	v_add_nc_u32_e32 v10, 0x2400, v20
	v_add_nc_u32_e32 v4, 0x3de, v48
	v_mov_b32_e32 v5, v49
	v_add_co_u32 v12, vcc_lo, v21, v0
	v_add_co_ci_u32_e32 v13, vcc_lo, v22, v1, vcc_lo
	ds_read2_b64 v[0:3], v2 offset0:94 offset1:193
	v_lshlrev_b64 v[14:15], 3, v[8:9]
	ds_read2_b64 v[8:11], v10 offset0:36 offset1:135
	v_lshlrev_b64 v[4:5], 3, v[4:5]
	v_add_nc_u32_e32 v16, 0x4a4, v48
	v_mov_b32_e32 v17, v49
	v_add_nc_u32_e32 v18, 0x507, v48
	v_add_co_u32 v4, vcc_lo, v21, v4
	v_lshlrev_b64 v[16:17], 3, v[16:17]
	v_add_co_ci_u32_e32 v5, vcc_lo, v22, v5, vcc_lo
	v_add_co_u32 v14, vcc_lo, v21, v14
	v_add_co_ci_u32_e32 v15, vcc_lo, v22, v15, vcc_lo
	v_add_co_u32 v16, vcc_lo, v21, v16
	v_add_co_ci_u32_e32 v17, vcc_lo, v22, v17, vcc_lo
	global_store_dwordx2 v[12:13], v[6:7], off
	s_waitcnt lgkmcnt(1)
	global_store_dwordx2 v[4:5], v[0:1], off
	global_store_dwordx2 v[14:15], v[2:3], off
	s_waitcnt lgkmcnt(0)
	global_store_dwordx2 v[16:17], v[8:9], off
	v_lshlrev_b64 v[0:1], 3, v[18:19]
	v_add_nc_u32_e32 v2, 0x2800, v20
	v_add_nc_u32_e32 v4, 0x56a, v48
	v_mov_b32_e32 v5, v49
	v_add_nc_u32_e32 v6, 0x5cd, v48
	v_mov_b32_e32 v7, v49
	v_add_nc_u32_e32 v18, 0x3000, v20
	v_add_co_u32 v8, vcc_lo, v21, v0
	v_add_co_ci_u32_e32 v9, vcc_lo, v22, v1, vcc_lo
	ds_read2_b64 v[0:3], v2 offset0:106 offset1:205
	v_lshlrev_b64 v[12:13], 3, v[4:5]
	v_lshlrev_b64 v[14:15], 3, v[6:7]
	v_add_nc_u32_e32 v16, 0x630, v48
	v_mov_b32_e32 v17, v49
	ds_read2_b64 v[4:7], v18 offset0:48 offset1:147
	v_add_nc_u32_e32 v48, 0x693, v48
	v_add_co_u32 v12, vcc_lo, v21, v12
	v_lshlrev_b64 v[16:17], 3, v[16:17]
	v_add_co_ci_u32_e32 v13, vcc_lo, v22, v13, vcc_lo
	v_add_co_u32 v14, vcc_lo, v21, v14
	v_lshlrev_b64 v[18:19], 3, v[48:49]
	v_add_co_ci_u32_e32 v15, vcc_lo, v22, v15, vcc_lo
	v_add_co_u32 v16, vcc_lo, v21, v16
	v_add_co_ci_u32_e32 v17, vcc_lo, v22, v17, vcc_lo
	v_add_co_u32 v18, vcc_lo, v21, v18
	v_add_co_ci_u32_e32 v19, vcc_lo, v22, v19, vcc_lo
	global_store_dwordx2 v[8:9], v[10:11], off
	s_waitcnt lgkmcnt(1)
	global_store_dwordx2 v[12:13], v[0:1], off
	global_store_dwordx2 v[14:15], v[2:3], off
	s_waitcnt lgkmcnt(0)
	global_store_dwordx2 v[16:17], v[4:5], off
	global_store_dwordx2 v[18:19], v[6:7], off
.LBB0_23:
	s_endpgm
	.section	.rodata,"a",@progbits
	.p2align	6, 0x0
	.amdhsa_kernel fft_rtc_back_len1782_factors_11_3_3_3_3_2_wgs_99_tpt_99_halfLds_sp_op_CI_CI_unitstride_sbrr_C2R_dirReg
		.amdhsa_group_segment_fixed_size 0
		.amdhsa_private_segment_fixed_size 0
		.amdhsa_kernarg_size 104
		.amdhsa_user_sgpr_count 6
		.amdhsa_user_sgpr_private_segment_buffer 1
		.amdhsa_user_sgpr_dispatch_ptr 0
		.amdhsa_user_sgpr_queue_ptr 0
		.amdhsa_user_sgpr_kernarg_segment_ptr 1
		.amdhsa_user_sgpr_dispatch_id 0
		.amdhsa_user_sgpr_flat_scratch_init 0
		.amdhsa_user_sgpr_private_segment_size 0
		.amdhsa_wavefront_size32 1
		.amdhsa_uses_dynamic_stack 0
		.amdhsa_system_sgpr_private_segment_wavefront_offset 0
		.amdhsa_system_sgpr_workgroup_id_x 1
		.amdhsa_system_sgpr_workgroup_id_y 0
		.amdhsa_system_sgpr_workgroup_id_z 0
		.amdhsa_system_sgpr_workgroup_info 0
		.amdhsa_system_vgpr_workitem_id 0
		.amdhsa_next_free_vgpr 172
		.amdhsa_next_free_sgpr 27
		.amdhsa_reserve_vcc 1
		.amdhsa_reserve_flat_scratch 0
		.amdhsa_float_round_mode_32 0
		.amdhsa_float_round_mode_16_64 0
		.amdhsa_float_denorm_mode_32 3
		.amdhsa_float_denorm_mode_16_64 3
		.amdhsa_dx10_clamp 1
		.amdhsa_ieee_mode 1
		.amdhsa_fp16_overflow 0
		.amdhsa_workgroup_processor_mode 1
		.amdhsa_memory_ordered 1
		.amdhsa_forward_progress 0
		.amdhsa_shared_vgpr_count 0
		.amdhsa_exception_fp_ieee_invalid_op 0
		.amdhsa_exception_fp_denorm_src 0
		.amdhsa_exception_fp_ieee_div_zero 0
		.amdhsa_exception_fp_ieee_overflow 0
		.amdhsa_exception_fp_ieee_underflow 0
		.amdhsa_exception_fp_ieee_inexact 0
		.amdhsa_exception_int_div_zero 0
	.end_amdhsa_kernel
	.text
.Lfunc_end0:
	.size	fft_rtc_back_len1782_factors_11_3_3_3_3_2_wgs_99_tpt_99_halfLds_sp_op_CI_CI_unitstride_sbrr_C2R_dirReg, .Lfunc_end0-fft_rtc_back_len1782_factors_11_3_3_3_3_2_wgs_99_tpt_99_halfLds_sp_op_CI_CI_unitstride_sbrr_C2R_dirReg
                                        ; -- End function
	.section	.AMDGPU.csdata,"",@progbits
; Kernel info:
; codeLenInByte = 14164
; NumSgprs: 29
; NumVgprs: 172
; ScratchSize: 0
; MemoryBound: 0
; FloatMode: 240
; IeeeMode: 1
; LDSByteSize: 0 bytes/workgroup (compile time only)
; SGPRBlocks: 3
; VGPRBlocks: 21
; NumSGPRsForWavesPerEU: 29
; NumVGPRsForWavesPerEU: 172
; Occupancy: 5
; WaveLimiterHint : 1
; COMPUTE_PGM_RSRC2:SCRATCH_EN: 0
; COMPUTE_PGM_RSRC2:USER_SGPR: 6
; COMPUTE_PGM_RSRC2:TRAP_HANDLER: 0
; COMPUTE_PGM_RSRC2:TGID_X_EN: 1
; COMPUTE_PGM_RSRC2:TGID_Y_EN: 0
; COMPUTE_PGM_RSRC2:TGID_Z_EN: 0
; COMPUTE_PGM_RSRC2:TIDIG_COMP_CNT: 0
	.text
	.p2alignl 6, 3214868480
	.fill 48, 4, 3214868480
	.type	__hip_cuid_b42d42eb2958f73,@object ; @__hip_cuid_b42d42eb2958f73
	.section	.bss,"aw",@nobits
	.globl	__hip_cuid_b42d42eb2958f73
__hip_cuid_b42d42eb2958f73:
	.byte	0                               ; 0x0
	.size	__hip_cuid_b42d42eb2958f73, 1

	.ident	"AMD clang version 19.0.0git (https://github.com/RadeonOpenCompute/llvm-project roc-6.4.0 25133 c7fe45cf4b819c5991fe208aaa96edf142730f1d)"
	.section	".note.GNU-stack","",@progbits
	.addrsig
	.addrsig_sym __hip_cuid_b42d42eb2958f73
	.amdgpu_metadata
---
amdhsa.kernels:
  - .args:
      - .actual_access:  read_only
        .address_space:  global
        .offset:         0
        .size:           8
        .value_kind:     global_buffer
      - .offset:         8
        .size:           8
        .value_kind:     by_value
      - .actual_access:  read_only
        .address_space:  global
        .offset:         16
        .size:           8
        .value_kind:     global_buffer
      - .actual_access:  read_only
        .address_space:  global
        .offset:         24
        .size:           8
        .value_kind:     global_buffer
      - .actual_access:  read_only
        .address_space:  global
        .offset:         32
        .size:           8
        .value_kind:     global_buffer
      - .offset:         40
        .size:           8
        .value_kind:     by_value
      - .actual_access:  read_only
        .address_space:  global
        .offset:         48
        .size:           8
        .value_kind:     global_buffer
      - .actual_access:  read_only
        .address_space:  global
        .offset:         56
        .size:           8
        .value_kind:     global_buffer
      - .offset:         64
        .size:           4
        .value_kind:     by_value
      - .actual_access:  read_only
        .address_space:  global
        .offset:         72
        .size:           8
        .value_kind:     global_buffer
      - .actual_access:  read_only
        .address_space:  global
        .offset:         80
        .size:           8
        .value_kind:     global_buffer
      - .actual_access:  read_only
        .address_space:  global
        .offset:         88
        .size:           8
        .value_kind:     global_buffer
      - .actual_access:  write_only
        .address_space:  global
        .offset:         96
        .size:           8
        .value_kind:     global_buffer
    .group_segment_fixed_size: 0
    .kernarg_segment_align: 8
    .kernarg_segment_size: 104
    .language:       OpenCL C
    .language_version:
      - 2
      - 0
    .max_flat_workgroup_size: 99
    .name:           fft_rtc_back_len1782_factors_11_3_3_3_3_2_wgs_99_tpt_99_halfLds_sp_op_CI_CI_unitstride_sbrr_C2R_dirReg
    .private_segment_fixed_size: 0
    .sgpr_count:     29
    .sgpr_spill_count: 0
    .symbol:         fft_rtc_back_len1782_factors_11_3_3_3_3_2_wgs_99_tpt_99_halfLds_sp_op_CI_CI_unitstride_sbrr_C2R_dirReg.kd
    .uniform_work_group_size: 1
    .uses_dynamic_stack: false
    .vgpr_count:     172
    .vgpr_spill_count: 0
    .wavefront_size: 32
    .workgroup_processor_mode: 1
amdhsa.target:   amdgcn-amd-amdhsa--gfx1030
amdhsa.version:
  - 1
  - 2
...

	.end_amdgpu_metadata
